;; amdgpu-corpus repo=ROCm/rocFFT kind=compiled arch=gfx1201 opt=O3
	.text
	.amdgcn_target "amdgcn-amd-amdhsa--gfx1201"
	.amdhsa_code_object_version 6
	.protected	bluestein_single_back_len1100_dim1_sp_op_CI_CI ; -- Begin function bluestein_single_back_len1100_dim1_sp_op_CI_CI
	.globl	bluestein_single_back_len1100_dim1_sp_op_CI_CI
	.p2align	8
	.type	bluestein_single_back_len1100_dim1_sp_op_CI_CI,@function
bluestein_single_back_len1100_dim1_sp_op_CI_CI: ; @bluestein_single_back_len1100_dim1_sp_op_CI_CI
; %bb.0:
	s_load_b128 s[12:15], s[0:1], 0x28
	v_mul_u32_u24_e32 v1, 0x254, v0
	s_mov_b32 s2, exec_lo
	v_mov_b32_e32 v73, 0
	s_delay_alu instid0(VALU_DEP_2) | instskip(NEXT) | instid1(VALU_DEP_1)
	v_lshrrev_b32_e32 v1, 16, v1
	v_add_nc_u32_e32 v72, ttmp9, v1
	s_wait_kmcnt 0x0
	s_delay_alu instid0(VALU_DEP_1)
	v_cmpx_gt_u64_e64 s[12:13], v[72:73]
	s_cbranch_execz .LBB0_10
; %bb.1:
	s_clause 0x1
	s_load_b128 s[4:7], s[0:1], 0x18
	s_load_b128 s[8:11], s[0:1], 0x0
	v_mul_lo_u16 v1, 0x6e, v1
	s_movk_i32 s2, 0xf240
	s_mov_b32 s3, -1
	s_load_b64 s[0:1], s[0:1], 0x38
	s_delay_alu instid0(VALU_DEP_1) | instskip(NEXT) | instid1(VALU_DEP_1)
	v_sub_nc_u16 v32, v0, v1
	v_and_b32_e32 v95, 0xffff, v32
	s_delay_alu instid0(VALU_DEP_1)
	v_lshlrev_b32_e32 v96, 3, v95
	s_wait_kmcnt 0x0
	s_load_b128 s[16:19], s[4:5], 0x0
	s_clause 0x7
	global_load_b64 v[87:88], v96, s[8:9] offset:4400
	global_load_b64 v[73:74], v96, s[8:9] offset:5280
	;; [unrolled: 1-line block ×3, first 2 shown]
	global_load_b64 v[91:92], v96, s[8:9]
	global_load_b64 v[83:84], v96, s[8:9] offset:880
	global_load_b64 v[81:82], v96, s[8:9] offset:1760
	;; [unrolled: 1-line block ×4, first 2 shown]
	s_wait_kmcnt 0x0
	v_mad_co_u64_u32 v[0:1], null, s18, v72, 0
	v_mad_co_u64_u32 v[2:3], null, s16, v95, 0
	s_mul_u64 s[4:5], s[16:17], 0x1130
	s_mul_u64 s[2:3], s[16:17], s[2:3]
	s_delay_alu instid0(VALU_DEP_1) | instskip(NEXT) | instid1(VALU_DEP_1)
	v_mad_co_u64_u32 v[4:5], null, s19, v72, v[1:2]
	v_mad_co_u64_u32 v[5:6], null, s17, v95, v[3:4]
	v_mov_b32_e32 v1, v4
	s_delay_alu instid0(VALU_DEP_1) | instskip(NEXT) | instid1(VALU_DEP_3)
	v_lshlrev_b64_e32 v[0:1], 3, v[0:1]
	v_mov_b32_e32 v3, v5
	s_delay_alu instid0(VALU_DEP_2) | instskip(NEXT) | instid1(VALU_DEP_2)
	v_add_co_u32 v0, vcc_lo, s14, v0
	v_lshlrev_b64_e32 v[2:3], 3, v[2:3]
	s_delay_alu instid0(VALU_DEP_4) | instskip(NEXT) | instid1(VALU_DEP_2)
	v_add_co_ci_u32_e32 v1, vcc_lo, s15, v1, vcc_lo
	v_add_co_u32 v0, vcc_lo, v0, v2
	s_wait_alu 0xfffd
	s_delay_alu instid0(VALU_DEP_2) | instskip(NEXT) | instid1(VALU_DEP_2)
	v_add_co_ci_u32_e32 v1, vcc_lo, v1, v3, vcc_lo
	v_add_co_u32 v2, vcc_lo, v0, s4
	s_wait_alu 0xfffd
	s_delay_alu instid0(VALU_DEP_2) | instskip(NEXT) | instid1(VALU_DEP_2)
	v_add_co_ci_u32_e32 v3, vcc_lo, s5, v1, vcc_lo
	v_add_co_u32 v4, vcc_lo, v2, s2
	s_wait_alu 0xfffd
	s_delay_alu instid0(VALU_DEP_2)
	v_add_co_ci_u32_e32 v5, vcc_lo, s3, v3, vcc_lo
	s_clause 0x1
	global_load_b64 v[8:9], v[0:1], off
	global_load_b64 v[2:3], v[2:3], off
	v_add_co_u32 v6, vcc_lo, v4, s4
	s_wait_alu 0xfffd
	v_add_co_ci_u32_e32 v7, vcc_lo, s5, v5, vcc_lo
	s_delay_alu instid0(VALU_DEP_2) | instskip(SKIP_1) | instid1(VALU_DEP_2)
	v_add_co_u32 v0, vcc_lo, v6, s2
	s_wait_alu 0xfffd
	v_add_co_ci_u32_e32 v1, vcc_lo, s3, v7, vcc_lo
	s_clause 0x1
	global_load_b64 v[4:5], v[4:5], off
	global_load_b64 v[6:7], v[6:7], off
	v_add_co_u32 v10, vcc_lo, v0, s4
	s_wait_alu 0xfffd
	v_add_co_ci_u32_e32 v11, vcc_lo, s5, v1, vcc_lo
	global_load_b64 v[12:13], v[0:1], off
	v_add_co_u32 v0, vcc_lo, v10, s2
	s_wait_alu 0xfffd
	v_add_co_ci_u32_e32 v1, vcc_lo, s3, v11, vcc_lo
	;; [unrolled: 4-line block ×5, first 2 shown]
	global_load_b64 v[85:86], v96, s[8:9] offset:3520
	global_load_b64 v[20:21], v[0:1], off
	global_load_b64 v[89:90], v96, s[8:9] offset:7920
	global_load_b64 v[18:19], v[18:19], off
	v_add_nc_u32_e32 v0, 0x1800, v96
	v_add_nc_u32_e32 v34, 0xc00, v96
	s_load_b128 s[4:7], s[6:7], 0x0
	v_cmp_gt_u16_e32 vcc_lo, 0x64, v32
	s_wait_loadcnt 0xb
	v_mul_f32_e32 v24, v9, v92
	s_wait_loadcnt 0xa
	v_mul_f32_e32 v22, v3, v88
	v_mul_f32_e32 v25, v8, v92
	v_add_nc_u32_e32 v33, 0x1400, v96
	v_dual_mul_f32 v23, v2, v88 :: v_dual_fmac_f32 v24, v8, v91
	s_delay_alu instid0(VALU_DEP_1)
	v_fma_f32 v23, v3, v87, -v23
	s_wait_loadcnt 0x7
	v_dual_mul_f32 v3, v4, v84 :: v_dual_mul_f32 v8, v13, v82
	v_fma_f32 v25, v9, v91, -v25
	v_mul_f32_e32 v9, v6, v74
	v_fmac_f32_e32 v22, v2, v87
	v_dual_mul_f32 v2, v5, v84 :: v_dual_lshlrev_b32 v35, 1, v95
	v_dual_fmac_f32 v8, v12, v81 :: v_dual_add_nc_u32 v1, 0x400, v96
	v_lshlrev_b32_e32 v57, 4, v95
	s_delay_alu instid0(VALU_DEP_3)
	v_fmac_f32_e32 v2, v4, v83
	v_mul_f32_e32 v4, v7, v74
	ds_store_b64 v96, v[22:23] offset:4400
	v_mul_f32_e32 v22, v12, v82
	s_wait_loadcnt 0x5
	v_dual_mul_f32 v12, v17, v80 :: v_dual_lshlrev_b32 v37, 3, v35
	v_fmac_f32_e32 v4, v6, v73
	v_fma_f32 v3, v5, v83, -v3
	v_fma_f32 v5, v7, v73, -v9
	v_mul_f32_e32 v6, v11, v78
	v_dual_mul_f32 v7, v10, v78 :: v_dual_fmac_f32 v12, v16, v79
	v_add_nc_u32_e32 v59, 0x294, v35
	v_add_nc_u32_e32 v71, 0x370, v35
	v_add_co_u32 v44, s2, 0x6e, v95
	s_delay_alu instid0(VALU_DEP_4)
	v_fma_f32 v7, v11, v77, -v7
	s_wait_loadcnt 0x4
	v_mul_f32_e32 v11, v14, v76
	v_fma_f32 v9, v13, v81, -v22
	v_dual_mul_f32 v13, v16, v80 :: v_dual_fmac_f32 v6, v10, v77
	v_mul_f32_e32 v10, v15, v76
	s_wait_loadcnt 0x0
	v_mul_f32_e32 v16, v19, v90
	v_mul_f32_e32 v22, v18, v90
	v_fma_f32 v13, v17, v79, -v13
	v_dual_mul_f32 v17, v20, v86 :: v_dual_fmac_f32 v10, v14, v75
	v_mul_f32_e32 v14, v21, v86
	v_fma_f32 v11, v15, v75, -v11
	v_fmac_f32_e32 v16, v18, v89
	s_delay_alu instid0(VALU_DEP_4)
	v_fma_f32 v15, v21, v85, -v17
	v_fma_f32 v17, v19, v89, -v22
	v_fmac_f32_e32 v14, v20, v85
	ds_store_2addr_b64 v96, v[24:25], v[2:3] offset1:110
	ds_store_2addr_b64 v33, v[4:5], v[6:7] offset0:20 offset1:130
	ds_store_2addr_b64 v1, v[8:9], v[12:13] offset0:92 offset1:202
	ds_store_b64 v96, v[14:15] offset:3520
	ds_store_2addr_b64 v0, v[10:11], v[16:17] offset0:112 offset1:222
	global_wb scope:SCOPE_SE
	s_wait_dscnt 0x0
	s_wait_kmcnt 0x0
	s_barrier_signal -1
	s_barrier_wait -1
	global_inv scope:SCOPE_SE
	ds_load_2addr_b64 v[2:5], v96 offset1:110
	ds_load_2addr_b64 v[6:9], v34 offset0:56 offset1:166
	ds_load_2addr_b64 v[10:13], v33 offset0:20 offset1:130
	;; [unrolled: 1-line block ×4, first 2 shown]
	s_wait_alu 0xf1ff
	v_add_co_ci_u32_e64 v22, null, 0, 0, s2
	v_lshlrev_b32_e32 v56, 4, v44
	global_wb scope:SCOPE_SE
	s_wait_dscnt 0x0
	s_barrier_signal -1
	s_barrier_wait -1
	global_inv scope:SCOPE_SE
	v_add_co_u32 v54, s2, s8, v96
	s_wait_alu 0xf1ff
	v_add_co_ci_u32_e64 v55, null, s9, 0, s2
	v_dual_sub_f32 v22, v2, v8 :: v_dual_sub_f32 v23, v3, v9
	v_dual_sub_f32 v10, v4, v10 :: v_dual_sub_f32 v11, v5, v11
	v_dual_sub_f32 v26, v14, v12 :: v_dual_sub_f32 v27, v15, v13
	v_dual_sub_f32 v18, v16, v18 :: v_dual_sub_f32 v19, v17, v19
	v_dual_sub_f32 v30, v6, v20 :: v_dual_sub_f32 v31, v7, v21
	v_fma_f32 v20, v2, 2.0, -v22
	v_fma_f32 v21, v3, 2.0, -v23
	;; [unrolled: 1-line block ×10, first 2 shown]
	ds_store_b128 v57, v[20:23]
	ds_store_b128 v56, v[8:11]
	ds_store_b128 v37, v[24:27] offset:3520
	ds_store_b128 v37, v[16:19] offset:5280
	ds_store_b128 v37, v[28:31] offset:7040
	global_wb scope:SCOPE_SE
	s_wait_dscnt 0x0
	s_barrier_signal -1
	s_barrier_wait -1
	global_inv scope:SCOPE_SE
	v_lshlrev_b32_e32 v10, 1, v44
	ds_load_2addr_b64 v[2:5], v34 offset0:56 offset1:166
	v_and_b32_e32 v36, 1, v95
	ds_load_2addr_b64 v[6:9], v33 offset0:20 offset1:130
	v_and_or_b32 v15, 0x1fc, v10, v36
	ds_load_2addr_b64 v[10:13], v0 offset0:112 offset1:222
	v_lshlrev_b32_e32 v38, 3, v36
	global_load_b64 v[52:53], v38, s[10:11]
	ds_load_2addr_b64 v[20:23], v96 offset1:110
	ds_load_2addr_b64 v[40:43], v1 offset0:92 offset1:202
	global_wb scope:SCOPE_SE
	s_wait_loadcnt_dscnt 0x0
	s_barrier_signal -1
	s_barrier_wait -1
	global_inv scope:SCOPE_SE
	v_mul_f32_e32 v19, v11, v53
	v_mul_f32_e32 v24, v8, v53
	v_dual_mul_f32 v25, v10, v53 :: v_dual_lshlrev_b32 v102, 3, v15
	v_mul_f32_e32 v15, v4, v53
	v_and_or_b32 v17, 0x3fc, v59, v36
	s_delay_alu instid0(VALU_DEP_4) | instskip(NEXT) | instid1(VALU_DEP_4)
	v_fmac_f32_e32 v24, v9, v52
	v_fmac_f32_e32 v25, v11, v52
	v_and_or_b32 v14, 0xfc, v35, v36
	v_and_or_b32 v18, 0x7fc, v71, v36
	s_delay_alu instid0(VALU_DEP_4) | instskip(SKIP_1) | instid1(VALU_DEP_4)
	v_dual_sub_f32 v31, v41, v24 :: v_dual_lshlrev_b32 v100, 3, v17
	v_dual_mul_f32 v17, v6, v53 :: v_dual_add_nc_u32 v58, 0x1b8, v35
	v_dual_mul_f32 v28, v12, v53 :: v_dual_lshlrev_b32 v103, 3, v14
	s_delay_alu instid0(VALU_DEP_4) | instskip(NEXT) | instid1(VALU_DEP_3)
	v_lshlrev_b32_e32 v99, 3, v18
	v_fmac_f32_e32 v17, v7, v52
	s_delay_alu instid0(VALU_DEP_4) | instskip(SKIP_3) | instid1(VALU_DEP_4)
	v_and_or_b32 v16, 0x3fc, v58, v36
	v_mul_f32_e32 v18, v9, v53
	v_mul_f32_e32 v26, v13, v53
	v_fmac_f32_e32 v28, v13, v52
	v_dual_mul_f32 v14, v5, v53 :: v_dual_lshlrev_b32 v101, 3, v16
	v_dual_mul_f32 v16, v7, v53 :: v_dual_fmac_f32 v15, v5, v52
	s_delay_alu instid0(VALU_DEP_3) | instskip(NEXT) | instid1(VALU_DEP_3)
	v_sub_f32_e32 v39, v3, v28
	v_fma_f32 v4, v4, v52, -v14
	v_fma_f32 v7, v10, v52, -v19
	s_delay_alu instid0(VALU_DEP_4) | instskip(SKIP_3) | instid1(VALU_DEP_4)
	v_fma_f32 v5, v6, v52, -v16
	v_fma_f32 v6, v8, v52, -v18
	;; [unrolled: 1-line block ×3, first 2 shown]
	v_dual_sub_f32 v18, v20, v4 :: v_dual_sub_f32 v19, v21, v15
	v_sub_f32_e32 v34, v22, v5
	s_delay_alu instid0(VALU_DEP_4)
	v_dual_sub_f32 v35, v23, v17 :: v_dual_sub_f32 v30, v40, v6
	v_dual_sub_f32 v26, v42, v7 :: v_dual_sub_f32 v27, v43, v25
	v_sub_f32_e32 v38, v2, v8
	v_fma_f32 v16, v20, 2.0, -v18
	v_fma_f32 v17, v21, 2.0, -v19
	;; [unrolled: 1-line block ×10, first 2 shown]
	ds_store_2addr_b64 v103, v[16:17], v[18:19] offset1:2
	ds_store_2addr_b64 v102, v[32:33], v[34:35] offset1:2
	;; [unrolled: 1-line block ×5, first 2 shown]
	global_wb scope:SCOPE_SE
	s_wait_dscnt 0x0
	s_barrier_signal -1
	s_barrier_wait -1
	global_inv scope:SCOPE_SE
                                        ; implicit-def: $vgpr40
	s_and_saveexec_b32 s2, vcc_lo
	s_cbranch_execz .LBB0_3
; %bb.2:
	v_add_nc_u32_e32 v2, 0x800, v96
	v_add_nc_u32_e32 v3, 0x1000, v96
	ds_load_2addr_b64 v[16:19], v96 offset1:100
	ds_load_2addr_b64 v[32:35], v1 offset0:72 offset1:172
	ds_load_2addr_b64 v[28:31], v2 offset0:144 offset1:244
	ds_load_2addr_b64 v[24:27], v3 offset0:88 offset1:188
	ds_load_2addr_b64 v[36:39], v0 offset0:32 offset1:132
	ds_load_b64 v[40:41], v96 offset:8000
.LBB0_3:
	s_wait_alu 0xfffe
	s_or_b32 exec_lo, exec_lo, s2
	v_and_b32_e32 v97, 3, v95
	v_lshlrev_b32_e32 v59, 3, v59
	s_delay_alu instid0(VALU_DEP_2)
	v_mad_co_u64_u32 v[20:21], null, 0x50, v97, s[10:11]
	s_clause 0x4
	global_load_b128 v[12:15], v[20:21], off offset:16
	global_load_b128 v[4:7], v[20:21], off offset:32
	;; [unrolled: 1-line block ×5, first 2 shown]
	global_wb scope:SCOPE_SE
	s_wait_loadcnt_dscnt 0x0
	s_barrier_signal -1
	s_barrier_wait -1
	global_inv scope:SCOPE_SE
	v_mul_f32_e32 v60, v19, v13
	v_dual_mul_f32 v62, v18, v13 :: v_dual_mul_f32 v61, v33, v15
	v_dual_mul_f32 v51, v32, v15 :: v_dual_mul_f32 v50, v34, v5
	;; [unrolled: 1-line block ×7, first 2 shown]
	v_dual_mul_f32 v42, v40, v23 :: v_dual_fmac_f32 v51, v33, v14
	v_fma_f32 v67, v18, v12, -v60
	v_fma_f32 v66, v32, v14, -v61
	;; [unrolled: 1-line block ×3, first 2 shown]
	v_dual_mul_f32 v48, v30, v1 :: v_dual_mul_f32 v69, v25, v3
	v_dual_mul_f32 v47, v24, v3 :: v_dual_mul_f32 v70, v27, v9
	v_dual_fmac_f32 v62, v19, v12 :: v_dual_fmac_f32 v49, v29, v6
	v_fma_f32 v65, v34, v4, -v63
	v_fma_f32 v34, v36, v10, -v93
	v_dual_fmac_f32 v42, v41, v22 :: v_dual_fmac_f32 v43, v39, v20
	v_fmac_f32_e32 v46, v27, v8
	v_fma_f32 v33, v38, v20, -v94
	v_sub_f32_e32 v112, v67, v32
	v_dual_fmac_f32 v50, v35, v4 :: v_dual_fmac_f32 v47, v25, v2
	v_fma_f32 v64, v28, v6, -v64
	v_dual_fmac_f32 v48, v31, v0 :: v_dual_fmac_f32 v45, v37, v10
	v_fma_f32 v35, v26, v8, -v70
	v_add_f32_e32 v31, v62, v42
	v_dual_sub_f32 v114, v66, v33 :: v_dual_add_f32 v25, v65, v34
	v_dual_add_f32 v26, v49, v46 :: v_dual_mul_f32 v107, 0xbf0a6770, v112
	v_fma_f32 v63, v30, v0, -v68
	v_fma_f32 v61, v24, v2, -v69
	v_dual_sub_f32 v104, v62, v42 :: v_dual_sub_f32 v105, v51, v43
	v_add_f32_e32 v28, v51, v43
	v_dual_sub_f32 v111, v64, v35 :: v_dual_sub_f32 v108, v49, v46
	v_mul_f32_e32 v70, 0xbf68dda4, v114
	v_fma_f32 v60, 0x3f575c64, v31, -v107
	v_dual_add_f32 v18, v67, v32 :: v_dual_add_f32 v19, v66, v33
	v_dual_add_f32 v24, v64, v35 :: v_dual_sub_f32 v113, v63, v61
	v_mul_f32_e32 v41, 0xbf0a6770, v104
	v_mul_f32_e32 v39, 0xbf68dda4, v105
	v_dual_mul_f32 v37, 0xbf4178ce, v108 :: v_dual_mul_f32 v40, 0xbf4178ce, v111
	v_fma_f32 v93, 0x3ed4b147, v28, -v70
	v_add_f32_e32 v60, v17, v60
	v_dual_sub_f32 v110, v65, v34 :: v_dual_add_f32 v27, v63, v61
	v_dual_sub_f32 v106, v50, v45 :: v_dual_sub_f32 v109, v48, v47
	s_delay_alu instid0(VALU_DEP_3) | instskip(SKIP_2) | instid1(VALU_DEP_4)
	v_dual_add_f32 v60, v93, v60 :: v_dual_fmamk_f32 v93, v24, 0xbf27a4f4, v37
	v_fmamk_f32 v36, v18, 0x3f575c64, v41
	v_dual_add_f32 v30, v50, v45 :: v_dual_add_f32 v29, v48, v47
	v_mul_f32_e32 v38, 0xbf7d64f0, v106
	v_mul_f32_e32 v68, 0xbf7d64f0, v110
	s_delay_alu instid0(VALU_DEP_4) | instskip(SKIP_1) | instid1(VALU_DEP_4)
	v_dual_fmamk_f32 v69, v19, 0x3ed4b147, v39 :: v_dual_add_f32 v94, v16, v36
	v_mul_f32_e32 v36, 0xbe903f40, v109
	v_fmamk_f32 v98, v25, 0xbe11bafb, v38
	s_delay_alu instid0(VALU_DEP_4) | instskip(SKIP_2) | instid1(VALU_DEP_3)
	v_fma_f32 v115, 0xbe11bafb, v30, -v68
	v_fma_f32 v116, 0xbf27a4f4, v26, -v40
	v_dual_add_f32 v94, v69, v94 :: v_dual_mul_f32 v69, 0xbe903f40, v113
	v_add_f32_e32 v60, v115, v60
	s_delay_alu instid0(VALU_DEP_2) | instskip(SKIP_1) | instid1(VALU_DEP_4)
	v_add_f32_e32 v94, v98, v94
	v_fmamk_f32 v98, v27, 0xbf75a155, v36
	v_fma_f32 v115, 0xbf75a155, v29, -v69
	s_delay_alu instid0(VALU_DEP_3) | instskip(SKIP_1) | instid1(VALU_DEP_2)
	v_dual_add_f32 v93, v93, v94 :: v_dual_add_f32 v94, v116, v60
	v_lshlrev_b32_e32 v60, 3, v58
	v_dual_add_f32 v93, v98, v93 :: v_dual_lshlrev_b32 v58, 3, v71
	s_delay_alu instid0(VALU_DEP_3)
	v_add_f32_e32 v94, v115, v94
	v_lshrrev_b32_e32 v98, 2, v95
	s_and_saveexec_b32 s2, vcc_lo
	s_cbranch_execz .LBB0_5
; %bb.4:
	v_mul_f32_e32 v132, 0xbf7d64f0, v104
	v_mul_f32_e32 v144, 0x3f0a6770, v105
	v_dual_mul_f32 v71, 0xbe11bafb, v31 :: v_dual_mul_f32 v128, 0xbe11bafb, v30
	v_mul_f32_e32 v119, 0xbf75a155, v31
	v_mul_f32_e32 v135, 0x3e903f40, v105
	s_delay_alu instid0(VALU_DEP_4) | instskip(SKIP_3) | instid1(VALU_DEP_3)
	v_fmamk_f32 v147, v19, 0x3f575c64, v144
	v_fmamk_f32 v117, v18, 0xbe11bafb, v132
	v_dual_mul_f32 v121, 0xbf75a155, v28 :: v_dual_mul_f32 v134, 0xbf75a155, v27
	v_fmamk_f32 v120, v112, 0x3e903f40, v119
	v_dual_fmamk_f32 v118, v19, 0xbf75a155, v135 :: v_dual_add_f32 v117, v16, v117
	v_fmamk_f32 v115, v112, 0x3f7d64f0, v71
	s_delay_alu instid0(VALU_DEP_4) | instskip(SKIP_2) | instid1(VALU_DEP_4)
	v_fmamk_f32 v116, v114, 0xbe903f40, v121
	v_mul_f32_e32 v129, 0x3ed4b147, v30
	v_dual_mul_f32 v133, 0x3f575c64, v26 :: v_dual_mul_f32 v122, 0x3f575c64, v28
	v_add_f32_e32 v115, v17, v115
	v_mul_f32_e32 v137, 0x3f68dda4, v106
	v_mul_f32_e32 v139, 0xbf0a6770, v108
	v_dual_mul_f32 v141, 0xbf4178ce, v109 :: v_dual_mul_f32 v148, 0xbf4178ce, v106
	s_delay_alu instid0(VALU_DEP_4)
	v_dual_add_f32 v115, v116, v115 :: v_dual_fmamk_f32 v116, v110, 0xbf68dda4, v129
	v_fmac_f32_e32 v71, 0xbf7d64f0, v112
	v_mul_f32_e32 v150, 0x3f68dda4, v113
	v_fma_f32 v132, 0xbe11bafb, v18, -v132
	v_fma_f32 v135, 0xbf75a155, v19, -v135
	v_dual_add_f32 v115, v116, v115 :: v_dual_fmamk_f32 v116, v111, 0x3f0a6770, v133
	v_mul_f32_e32 v136, 0xbf75a155, v29
	v_dual_mul_f32 v142, 0x3ed4b147, v26 :: v_dual_add_f32 v71, v17, v71
	v_add_f32_e32 v67, v16, v67
	s_delay_alu instid0(VALU_DEP_4)
	v_dual_add_f32 v115, v116, v115 :: v_dual_add_f32 v116, v118, v117
	v_fmamk_f32 v117, v25, 0x3ed4b147, v137
	v_mul_f32_e32 v138, 0xbf27a4f4, v29
	v_fmamk_f32 v146, v111, 0xbf68dda4, v142
	v_fmamk_f32 v145, v27, 0xbf27a4f4, v141
	v_dual_mul_f32 v123, 0x3f575c64, v18 :: v_dual_mul_f32 v124, 0x3f575c64, v31
	v_add_f32_e32 v117, v117, v116
	v_fmamk_f32 v118, v113, 0x3f4178ce, v138
	v_mul_f32_e32 v127, 0xbe11bafb, v25
	v_dual_mul_f32 v130, 0xbf27a4f4, v24 :: v_dual_mul_f32 v131, 0xbf27a4f4, v26
	s_delay_alu instid0(VALU_DEP_3) | instskip(SKIP_1) | instid1(VALU_DEP_3)
	v_dual_add_f32 v107, v107, v124 :: v_dual_add_f32 v116, v118, v115
	v_dual_add_f32 v115, v17, v120 :: v_dual_fmamk_f32 v118, v114, 0xbf0a6770, v122
	v_add_f32_e32 v40, v40, v131
	v_fmamk_f32 v140, v24, 0x3f575c64, v139
	v_mul_f32_e32 v120, 0xbf27a4f4, v30
	v_fmac_f32_e32 v142, 0x3f68dda4, v111
	v_add_f32_e32 v115, v118, v115
	v_fmac_f32_e32 v133, 0xbf0a6770, v111
	v_dual_add_f32 v117, v140, v117 :: v_dual_mul_f32 v140, 0xbe903f40, v104
	v_fmamk_f32 v118, v110, 0x3f4178ce, v120
	v_fmac_f32_e32 v120, 0xbf4178ce, v110
	v_fmac_f32_e32 v122, 0x3f0a6770, v114
	v_dual_mul_f32 v125, 0x3ed4b147, v19 :: v_dual_mul_f32 v126, 0x3ed4b147, v28
	v_fmamk_f32 v143, v18, 0xbf75a155, v140
	v_dual_add_f32 v118, v118, v115 :: v_dual_add_f32 v115, v145, v117
	v_mul_f32_e32 v145, 0x3f68dda4, v108
	v_dual_add_f32 v132, v16, v132 :: v_dual_fmac_f32 v129, 0x3f68dda4, v110
	s_delay_alu instid0(VALU_DEP_4) | instskip(NEXT) | instid1(VALU_DEP_4)
	v_add_f32_e32 v143, v16, v143
	v_dual_add_f32 v117, v146, v118 :: v_dual_mul_f32 v146, 0xbe11bafb, v29
	v_fma_f32 v140, 0xbf75a155, v18, -v140
	s_delay_alu instid0(VALU_DEP_4) | instskip(NEXT) | instid1(VALU_DEP_4)
	v_add_f32_e32 v132, v135, v132
	v_dual_add_f32 v118, v147, v143 :: v_dual_mul_f32 v147, 0xbf7d64f0, v109
	s_delay_alu instid0(VALU_DEP_4) | instskip(SKIP_4) | instid1(VALU_DEP_3)
	v_fmamk_f32 v149, v113, 0x3f7d64f0, v146
	v_fmac_f32_e32 v146, 0xbf7d64f0, v113
	v_fmamk_f32 v143, v25, 0xbf27a4f4, v148
	v_dual_add_f32 v107, v17, v107 :: v_dual_sub_f32 v38, v127, v38
	v_dual_sub_f32 v39, v125, v39 :: v_dual_sub_f32 v36, v134, v36
	v_dual_add_f32 v118, v143, v118 :: v_dual_fmamk_f32 v143, v24, 0x3ed4b147, v145
	v_fmac_f32_e32 v119, 0xbe903f40, v112
	v_fmamk_f32 v153, v29, 0x3ed4b147, v150
	v_fmac_f32_e32 v121, 0x3e903f40, v114
	v_mul_f32_e32 v152, 0xbf0a6770, v106
	s_delay_alu instid0(VALU_DEP_4) | instskip(SKIP_1) | instid1(VALU_DEP_4)
	v_dual_fmac_f32 v138, 0xbf4178ce, v113 :: v_dual_add_f32 v119, v17, v119
	v_dual_mul_f32 v113, 0x3f0a6770, v113 :: v_dual_add_f32 v126, v70, v126
	v_dual_add_f32 v71, v121, v71 :: v_dual_mul_f32 v106, 0x3e903f40, v106
	s_delay_alu instid0(VALU_DEP_3) | instskip(SKIP_1) | instid1(VALU_DEP_3)
	v_dual_add_f32 v119, v122, v119 :: v_dual_add_f32 v122, v143, v118
	v_add_f32_e32 v62, v17, v62
	v_add_f32_e32 v71, v129, v71
	s_delay_alu instid0(VALU_DEP_3) | instskip(NEXT) | instid1(VALU_DEP_3)
	v_add_f32_e32 v119, v120, v119
	v_dual_add_f32 v120, v16, v140 :: v_dual_add_f32 v51, v62, v51
	s_delay_alu instid0(VALU_DEP_3) | instskip(NEXT) | instid1(VALU_DEP_3)
	v_dual_add_f32 v71, v133, v71 :: v_dual_add_f32 v62, v67, v66
	v_dual_add_f32 v119, v142, v119 :: v_dual_mul_f32 v142, 0x3f7d64f0, v114
	v_dual_fmamk_f32 v143, v27, 0xbe11bafb, v147 :: v_dual_add_f32 v118, v149, v117
	v_fma_f32 v135, 0x3ed4b147, v25, -v137
	v_mul_f32_e32 v114, 0xbf4178ce, v114
	s_delay_alu instid0(VALU_DEP_3)
	v_dual_add_f32 v66, v126, v107 :: v_dual_add_f32 v117, v143, v122
	v_mul_f32_e32 v143, 0xbf4178ce, v112
	v_fma_f32 v122, 0x3f575c64, v19, -v144
	v_fma_f32 v144, 0xbf27a4f4, v25, -v148
	v_add_f32_e32 v129, v135, v132
	v_fma_f32 v132, 0x3f575c64, v24, -v139
	v_fmamk_f32 v140, v31, 0xbf27a4f4, v143
	v_add_f32_e32 v122, v122, v120
	v_dual_add_f32 v120, v146, v119 :: v_dual_mul_f32 v139, 0xbf4178ce, v105
	s_delay_alu instid0(VALU_DEP_4) | instskip(NEXT) | instid1(VALU_DEP_4)
	v_add_f32_e32 v129, v132, v129
	v_dual_add_f32 v119, v17, v140 :: v_dual_fmamk_f32 v140, v28, 0xbe11bafb, v142
	v_mul_f32_e32 v146, 0xbf0a6770, v110
	v_add_f32_e32 v122, v144, v122
	v_fma_f32 v144, 0x3ed4b147, v24, -v145
	v_mul_f32_e32 v145, 0xbf4178ce, v104
	s_delay_alu instid0(VALU_DEP_4) | instskip(SKIP_1) | instid1(VALU_DEP_4)
	v_dual_add_f32 v119, v140, v119 :: v_dual_fmamk_f32 v140, v30, 0x3f575c64, v146
	v_fma_f32 v147, 0xbe11bafb, v27, -v147
	v_add_f32_e32 v122, v144, v122
	v_mul_f32_e32 v148, 0xbe903f40, v111
	v_fma_f32 v144, 0xbf27a4f4, v18, -v145
	v_add_f32_e32 v119, v140, v119
	v_mul_f32_e32 v149, 0x3f7d64f0, v105
	v_mul_f32_e32 v110, 0x3e903f40, v110
	v_fmamk_f32 v140, v26, 0xbf75a155, v148
	v_add_f32_e32 v144, v16, v144
	v_mul_f32_e32 v132, 0xbf68dda4, v104
	v_fma_f32 v151, 0xbe11bafb, v19, -v149
	s_delay_alu instid0(VALU_DEP_4) | instskip(SKIP_2) | instid1(VALU_DEP_4)
	v_dual_fmamk_f32 v105, v30, 0xbf75a155, v110 :: v_dual_add_f32 v140, v140, v119
	v_add_f32_e32 v119, v147, v122
	v_fma_f32 v135, 0xbf27a4f4, v27, -v141
	v_add_f32_e32 v144, v151, v144
	v_fma_f32 v151, 0x3f575c64, v25, -v152
	v_add_f32_e32 v122, v153, v140
	v_mul_f32_e32 v140, 0xbe903f40, v108
	v_fma_f32 v137, 0x3ed4b147, v18, -v132
	v_dual_mul_f32 v111, 0x3f7d64f0, v111 :: v_dual_mul_f32 v108, 0x3f7d64f0, v108
	v_dual_add_f32 v144, v151, v144 :: v_dual_mul_f32 v151, 0x3f68dda4, v109
	s_delay_alu instid0(VALU_DEP_4) | instskip(SKIP_3) | instid1(VALU_DEP_4)
	v_fma_f32 v147, 0xbf75a155, v24, -v140
	v_mul_f32_e32 v109, 0x3f0a6770, v109
	v_dual_fmac_f32 v149, 0xbe11bafb, v19 :: v_dual_add_f32 v50, v51, v50
	v_add_f32_e32 v51, v62, v65
	v_add_f32_e32 v121, v147, v144
	v_fma_f32 v144, 0x3ed4b147, v27, -v151
	v_mul_f32_e32 v112, 0xbf68dda4, v112
	v_dual_add_f32 v62, v68, v128 :: v_dual_fmac_f32 v151, 0x3ed4b147, v27
	v_add_f32_e32 v49, v50, v49
	s_delay_alu instid0(VALU_DEP_4) | instskip(NEXT) | instid1(VALU_DEP_4)
	v_add_f32_e32 v121, v144, v121
	v_fmamk_f32 v133, v31, 0x3ed4b147, v112
	v_add_f32_e32 v50, v51, v64
	v_sub_f32_e32 v41, v123, v41
	v_dual_add_f32 v51, v62, v66 :: v_dual_fmamk_f32 v144, v29, 0x3f575c64, v113
	s_delay_alu instid0(VALU_DEP_4) | instskip(NEXT) | instid1(VALU_DEP_3)
	v_dual_add_f32 v104, v17, v133 :: v_dual_fmamk_f32 v133, v28, 0xbf27a4f4, v114
	v_add_f32_e32 v41, v16, v41
	s_delay_alu instid0(VALU_DEP_3)
	v_add_f32_e32 v40, v40, v51
	v_fmac_f32_e32 v152, 0x3f575c64, v25
	v_fmac_f32_e32 v132, 0x3ed4b147, v18
	v_dual_add_f32 v104, v133, v104 :: v_dual_add_f32 v133, v16, v137
	v_fma_f32 v137, 0xbf27a4f4, v19, -v139
	v_add_f32_e32 v39, v39, v41
	v_dual_add_f32 v41, v49, v48 :: v_dual_add_f32 v48, v50, v63
	v_fmac_f32_e32 v139, 0xbf27a4f4, v19
	s_delay_alu instid0(VALU_DEP_4) | instskip(SKIP_4) | instid1(VALU_DEP_4)
	v_add_f32_e32 v133, v137, v133
	v_fma_f32 v137, 0xbf75a155, v25, -v106
	v_fmac_f32_e32 v145, 0xbf27a4f4, v18
	v_add_f32_e32 v41, v41, v47
	v_dual_add_f32 v47, v48, v61 :: v_dual_add_f32 v38, v38, v39
	v_add_f32_e32 v133, v137, v133
	v_fma_f32 v137, 0xbe11bafb, v24, -v108
	v_sub_f32_e32 v39, v130, v37
	s_delay_alu instid0(VALU_DEP_4)
	v_add_f32_e32 v35, v47, v35
	v_fma_f32 v19, 0xbf75a155, v30, -v110
	v_fmac_f32_e32 v106, 0xbf75a155, v25
	v_add_f32_e32 v124, v137, v133
	v_dual_add_f32 v104, v105, v104 :: v_dual_fmamk_f32 v105, v26, 0xbe11bafb, v111
	v_dual_add_f32 v34, v35, v34 :: v_dual_add_f32 v49, v69, v136
	v_add_f32_e32 v38, v39, v38
	v_fmac_f32_e32 v140, 0xbf75a155, v24
	s_delay_alu instid0(VALU_DEP_3) | instskip(NEXT) | instid1(VALU_DEP_4)
	v_dual_add_f32 v141, v105, v104 :: v_dual_add_f32 v34, v34, v33
	v_add_f32_e32 v37, v49, v40
	v_add_f32_e32 v40, v41, v46
	v_fma_f32 v41, 0xbf27a4f4, v31, -v143
	v_add_f32_e32 v36, v36, v38
	v_fma_f32 v31, 0x3ed4b147, v31, -v112
	s_delay_alu instid0(VALU_DEP_4) | instskip(NEXT) | instid1(VALU_DEP_4)
	v_dual_add_f32 v32, v34, v32 :: v_dual_add_f32 v39, v40, v45
	v_add_f32_e32 v35, v17, v41
	v_fma_f32 v40, 0xbe11bafb, v28, -v142
	v_fma_f32 v28, 0xbf27a4f4, v28, -v114
	v_add_f32_e32 v104, v135, v129
	v_add_f32_e32 v38, v39, v43
	v_fma_f32 v39, 0x3f575c64, v30, -v146
	v_fma_f32 v129, 0x3f575c64, v27, -v109
	v_fmac_f32_e32 v109, 0x3f575c64, v27
	v_add_f32_e32 v105, v138, v71
	v_dual_add_f32 v33, v38, v42 :: v_dual_add_f32 v38, v16, v145
	v_add_f32_e32 v16, v16, v132
	v_add_f32_e32 v35, v40, v35
	v_dual_add_f32 v71, v144, v141 :: v_dual_add_f32 v70, v129, v124
	v_fmac_f32_e32 v108, 0xbe11bafb, v24
	s_delay_alu instid0(VALU_DEP_4) | instskip(NEXT) | instid1(VALU_DEP_4)
	v_dual_add_f32 v16, v139, v16 :: v_dual_add_f32 v17, v17, v31
	v_add_f32_e32 v34, v39, v35
	v_fma_f32 v35, 0xbf75a155, v26, -v148
	v_fma_f32 v26, 0xbe11bafb, v26, -v111
	s_delay_alu instid0(VALU_DEP_4) | instskip(SKIP_1) | instid1(VALU_DEP_4)
	v_dual_add_f32 v16, v106, v16 :: v_dual_add_f32 v17, v28, v17
	v_fma_f32 v28, 0x3ed4b147, v29, -v150
	v_add_f32_e32 v18, v35, v34
	s_delay_alu instid0(VALU_DEP_3) | instskip(SKIP_1) | instid1(VALU_DEP_2)
	v_dual_add_f32 v38, v149, v38 :: v_dual_add_f32 v17, v19, v17
	v_mul_u32_u24_e32 v19, 44, v98
	v_dual_add_f32 v31, v152, v38 :: v_dual_add_f32 v24, v26, v17
	s_delay_alu instid0(VALU_DEP_2) | instskip(SKIP_2) | instid1(VALU_DEP_4)
	v_or_b32_e32 v19, v19, v97
	v_fma_f32 v26, 0x3f575c64, v29, -v113
	v_add_f32_e32 v29, v108, v16
	v_add_f32_e32 v25, v140, v31
	v_add_f32_e32 v17, v28, v18
	v_lshlrev_b32_e32 v27, 3, v19
	s_delay_alu instid0(VALU_DEP_4) | instskip(NEXT) | instid1(VALU_DEP_4)
	v_dual_add_f32 v19, v26, v24 :: v_dual_add_f32 v18, v109, v29
	v_add_f32_e32 v16, v151, v25
	ds_store_2addr_b64 v27, v[32:33], v[36:37] offset1:4
	ds_store_2addr_b64 v27, v[70:71], v[104:105] offset0:8 offset1:12
	ds_store_2addr_b64 v27, v[121:122], v[119:120] offset0:16 offset1:20
	;; [unrolled: 1-line block ×4, first 2 shown]
	ds_store_b64 v27, v[93:94] offset:320
.LBB0_5:
	s_wait_alu 0xfffe
	s_or_b32 exec_lo, exec_lo, s2
	v_and_b32_e32 v16, 0xff, v95
	v_and_b32_e32 v17, 0xff, v44
	global_wb scope:SCOPE_SE
	s_wait_dscnt 0x0
	s_barrier_signal -1
	s_barrier_wait -1
	v_mul_lo_u16 v16, 0xbb, v16
	global_inv scope:SCOPE_SE
	s_add_nc_u64 s[2:3], s[8:9], 0x2260
	v_lshrrev_b16 v49, 13, v16
	v_mul_lo_u16 v16, 0xbb, v17
	s_delay_alu instid0(VALU_DEP_2) | instskip(NEXT) | instid1(VALU_DEP_2)
	v_mul_lo_u16 v17, v49, 44
	v_lshrrev_b16 v50, 13, v16
	s_delay_alu instid0(VALU_DEP_2) | instskip(NEXT) | instid1(VALU_DEP_2)
	v_sub_nc_u16 v16, v95, v17
	v_mul_lo_u16 v17, v50, 44
	s_delay_alu instid0(VALU_DEP_2) | instskip(NEXT) | instid1(VALU_DEP_2)
	v_and_b32_e32 v51, 0xff, v16
	v_sub_nc_u16 v16, v44, v17
	s_delay_alu instid0(VALU_DEP_2) | instskip(NEXT) | instid1(VALU_DEP_2)
	v_lshlrev_b32_e32 v17, 5, v51
	v_and_b32_e32 v71, 0xff, v16
	global_load_b128 v[32:35], v17, s[10:11] offset:336
	v_lshlrev_b32_e32 v16, 5, v71
	v_add_nc_u32_e32 v62, 0xc00, v96
	s_clause 0x2
	global_load_b128 v[28:31], v17, s[10:11] offset:352
	global_load_b128 v[24:27], v16, s[10:11] offset:336
	;; [unrolled: 1-line block ×3, first 2 shown]
	v_add_nc_u32_e32 v107, 0x400, v96
	v_add_nc_u32_e32 v61, 0x1400, v96
	ds_load_2addr_b64 v[36:39], v107 offset0:92 offset1:202
	ds_load_2addr_b64 v[40:43], v62 offset0:56 offset1:166
	;; [unrolled: 1-line block ×3, first 2 shown]
	v_add_nc_u32_e32 v106, 0x1800, v96
	ds_load_2addr_b64 v[67:70], v96 offset1:110
	v_lshlrev_b32_e32 v108, 5, v95
	ds_load_2addr_b64 v[63:66], v106 offset0:112 offset1:222
	v_and_b32_e32 v49, 0xffff, v49
	v_and_b32_e32 v50, 0xffff, v50
	global_wb scope:SCOPE_SE
	s_wait_loadcnt_dscnt 0x0
	s_barrier_signal -1
	s_barrier_wait -1
	global_inv scope:SCOPE_SE
	v_mul_f32_e32 v111, v64, v31
	v_mul_u32_u24_e32 v50, 0xdc, v50
	v_mul_f32_e32 v120, v65, v19
	v_mul_u32_u24_e32 v49, 0xdc, v49
	v_mul_f32_e32 v109, v46, v29
	v_mul_f32_e32 v110, v45, v29
	v_mul_f32_e32 v112, v63, v31
	v_add_lshl_u32 v104, v50, v71, 3
	v_add_lshl_u32 v105, v49, v51, 3
	v_dual_mul_f32 v50, v36, v33 :: v_dual_mul_f32 v51, v41, v35
	v_mul_f32_e32 v49, v37, v33
	v_mul_f32_e32 v71, v40, v35
	;; [unrolled: 1-line block ×3, first 2 shown]
	s_delay_alu instid0(VALU_DEP_4)
	v_dual_mul_f32 v115, v43, v27 :: v_dual_fmac_f32 v50, v37, v32
	v_dual_mul_f32 v116, v42, v27 :: v_dual_mul_f32 v117, v48, v17
	v_fmac_f32_e32 v110, v46, v28
	v_dual_mul_f32 v118, v47, v17 :: v_dual_mul_f32 v119, v66, v19
	v_fmac_f32_e32 v112, v64, v30
	v_mul_f32_e32 v114, v38, v25
	v_fma_f32 v37, v40, v34, -v51
	v_fma_f32 v45, v45, v28, -v109
	;; [unrolled: 1-line block ×3, first 2 shown]
	s_delay_alu instid0(VALU_DEP_4)
	v_dual_fmac_f32 v71, v41, v34 :: v_dual_fmac_f32 v114, v39, v24
	v_fma_f32 v51, v63, v30, -v111
	v_fma_f32 v38, v38, v24, -v113
	;; [unrolled: 1-line block ×3, first 2 shown]
	v_dual_fmac_f32 v116, v43, v26 :: v_dual_add_f32 v41, v37, v45
	v_fma_f32 v47, v47, v16, -v117
	v_dual_fmac_f32 v118, v48, v16 :: v_dual_sub_f32 v43, v51, v45
	v_fma_f32 v65, v65, v18, -v119
	v_dual_fmac_f32 v120, v66, v18 :: v_dual_add_f32 v39, v67, v36
	v_dual_sub_f32 v42, v36, v37 :: v_dual_add_f32 v109, v71, v110
	v_dual_add_f32 v46, v36, v51 :: v_dual_sub_f32 v113, v37, v45
	v_dual_sub_f32 v48, v37, v36 :: v_dual_add_f32 v63, v68, v50
	v_dual_add_f32 v119, v50, v112 :: v_dual_add_f32 v122, v69, v38
	v_dual_sub_f32 v64, v50, v112 :: v_dual_sub_f32 v49, v45, v51
	v_dual_add_f32 v123, v40, v47 :: v_dual_sub_f32 v126, v38, v40
	v_dual_sub_f32 v127, v65, v47 :: v_dual_add_f32 v132, v116, v118
	v_dual_sub_f32 v66, v71, v110 :: v_dual_sub_f32 v111, v36, v51
	v_dual_sub_f32 v115, v50, v71 :: v_dual_sub_f32 v50, v71, v50
	;; [unrolled: 1-line block ×3, first 2 shown]
	v_dual_sub_f32 v125, v116, v118 :: v_dual_add_f32 v128, v38, v65
	v_dual_add_f32 v131, v70, v114 :: v_dual_sub_f32 v134, v40, v47
	v_fma_f32 v36, -0.5, v41, v67
	v_add_f32_e32 v137, v114, v120
	v_dual_sub_f32 v129, v40, v38 :: v_dual_sub_f32 v138, v118, v120
	v_dual_sub_f32 v133, v38, v65 :: v_dual_sub_f32 v136, v120, v118
	v_dual_add_f32 v139, v39, v37 :: v_dual_add_f32 v140, v42, v43
	v_fma_f32 v38, -0.5, v46, v67
	v_add_f32_e32 v43, v63, v71
	v_fma_f32 v37, -0.5, v109, v68
	v_fma_f32 v39, -0.5, v119, v68
	v_dual_add_f32 v68, v50, v121 :: v_dual_sub_f32 v117, v112, v110
	v_dual_sub_f32 v124, v114, v120 :: v_dual_add_f32 v67, v48, v49
	v_add_f32_e32 v48, v122, v40
	v_fma_f32 v40, -0.5, v123, v69
	v_fma_f32 v41, -0.5, v132, v70
	v_dual_add_f32 v109, v126, v127 :: v_dual_add_f32 v50, v131, v116
	v_fma_f32 v69, -0.5, v128, v69
	v_fmamk_f32 v42, v64, 0x3f737871, v36
	v_fmac_f32_e32 v70, -0.5, v137
	v_dual_add_f32 v63, v139, v45 :: v_dual_fmac_f32 v36, 0xbf737871, v64
	v_dual_fmamk_f32 v45, v66, 0xbf737871, v38 :: v_dual_add_f32 v110, v43, v110
	v_fmamk_f32 v43, v111, 0xbf737871, v37
	v_dual_fmac_f32 v38, 0x3f737871, v66 :: v_dual_fmac_f32 v37, 0x3f737871, v111
	v_fmamk_f32 v46, v113, 0x3f737871, v39
	v_fmac_f32_e32 v39, 0xbf737871, v113
	v_dual_sub_f32 v135, v114, v116 :: v_dual_sub_f32 v114, v116, v114
	v_add_f32_e32 v71, v115, v117
	v_add_f32_e32 v117, v48, v47
	v_dual_fmamk_f32 v47, v124, 0x3f737871, v40 :: v_dual_add_f32 v118, v50, v118
	v_dual_fmamk_f32 v48, v133, 0xbf737871, v41 :: v_dual_add_f32 v63, v63, v51
	v_dual_fmac_f32 v40, 0xbf737871, v124 :: v_dual_fmamk_f32 v49, v125, 0xbf737871, v69
	v_dual_fmac_f32 v69, 0x3f737871, v125 :: v_dual_fmamk_f32 v50, v134, 0x3f737871, v70
	v_fmac_f32_e32 v41, 0x3f737871, v133
	v_fmac_f32_e32 v70, 0xbf737871, v134
	v_dual_fmac_f32 v42, 0x3f167918, v66 :: v_dual_fmac_f32 v45, 0x3f167918, v64
	v_dual_fmac_f32 v36, 0xbf167918, v66 :: v_dual_fmac_f32 v43, 0xbf167918, v113
	v_dual_fmac_f32 v38, 0xbf167918, v64 :: v_dual_add_f32 v65, v117, v65
	v_dual_fmac_f32 v37, 0x3f167918, v113 :: v_dual_add_f32 v66, v118, v120
	v_dual_fmac_f32 v46, 0xbf167918, v111 :: v_dual_fmac_f32 v69, 0xbf167918, v124
	v_dual_fmac_f32 v39, 0x3f167918, v111 :: v_dual_fmac_f32 v70, 0x3f167918, v133
	v_dual_add_f32 v115, v129, v130 :: v_dual_add_f32 v116, v135, v136
	v_fmac_f32_e32 v47, 0x3f167918, v125
	v_fmac_f32_e32 v48, 0xbf167918, v134
	v_add_f32_e32 v114, v114, v138
	v_add_f32_e32 v64, v110, v112
	v_fmac_f32_e32 v40, 0xbf167918, v125
	v_fmac_f32_e32 v49, 0x3f167918, v124
	;; [unrolled: 1-line block ×4, first 2 shown]
	v_dual_fmac_f32 v42, 0x3e9e377a, v140 :: v_dual_fmac_f32 v45, 0x3e9e377a, v67
	v_dual_fmac_f32 v36, 0x3e9e377a, v140 :: v_dual_fmac_f32 v43, 0x3e9e377a, v71
	v_dual_fmac_f32 v38, 0x3e9e377a, v67 :: v_dual_fmac_f32 v39, 0x3e9e377a, v68
	v_dual_fmac_f32 v37, 0x3e9e377a, v71 :: v_dual_fmac_f32 v46, 0x3e9e377a, v68
	v_dual_fmac_f32 v47, 0x3e9e377a, v109 :: v_dual_fmac_f32 v48, 0x3e9e377a, v116
	v_dual_fmac_f32 v40, 0x3e9e377a, v109 :: v_dual_fmac_f32 v49, 0x3e9e377a, v115
	v_dual_fmac_f32 v69, 0x3e9e377a, v115 :: v_dual_fmac_f32 v50, 0x3e9e377a, v114
	v_dual_fmac_f32 v41, 0x3e9e377a, v116 :: v_dual_fmac_f32 v70, 0x3e9e377a, v114
	ds_store_2addr_b64 v105, v[63:64], v[42:43] offset1:44
	ds_store_2addr_b64 v105, v[45:46], v[38:39] offset0:88 offset1:132
	ds_store_b64 v105, v[36:37] offset:1408
	ds_store_2addr_b64 v104, v[65:66], v[47:48] offset1:44
	ds_store_2addr_b64 v104, v[49:50], v[69:70] offset0:88 offset1:132
	ds_store_b64 v104, v[40:41] offset:1408
	v_lshlrev_b32_e32 v36, 5, v44
	global_wb scope:SCOPE_SE
	s_wait_dscnt 0x0
	s_barrier_signal -1
	s_barrier_wait -1
	global_inv scope:SCOPE_SE
	s_clause 0x3
	global_load_b128 v[40:43], v108, s[10:11] offset:1744
	global_load_b128 v[48:51], v108, s[10:11] offset:1760
	;; [unrolled: 1-line block ×4, first 2 shown]
	ds_load_2addr_b64 v[63:66], v107 offset0:92 offset1:202
	ds_load_2addr_b64 v[67:70], v62 offset0:56 offset1:166
	;; [unrolled: 1-line block ×4, first 2 shown]
	ds_load_2addr_b64 v[116:119], v96 offset1:110
	s_wait_loadcnt_dscnt 0x201
	v_dual_mul_f32 v123, v109, v49 :: v_dual_mul_f32 v126, v112, v51
	v_mul_f32_e32 v71, v64, v41
	v_dual_mul_f32 v120, v63, v41 :: v_dual_mul_f32 v121, v68, v43
	v_mul_f32_e32 v122, v67, v43
	s_wait_loadcnt 0x1
	v_dual_mul_f32 v124, v108, v49 :: v_dual_mul_f32 v129, v70, v47
	v_mul_f32_e32 v125, v113, v51
	v_fma_f32 v63, v63, v40, -v71
	v_fma_f32 v71, v108, v48, -v123
	v_fmac_f32_e32 v120, v64, v40
	v_fma_f32 v64, v67, v42, -v121
	v_fmac_f32_e32 v122, v68, v42
	v_dual_fmac_f32 v124, v109, v48 :: v_dual_mul_f32 v127, v66, v45
	v_mul_f32_e32 v130, v69, v47
	s_wait_loadcnt 0x0
	v_dual_mul_f32 v128, v65, v45 :: v_dual_mul_f32 v133, v115, v39
	v_dual_mul_f32 v131, v111, v37 :: v_dual_mul_f32 v134, v114, v39
	v_fma_f32 v121, v112, v50, -v125
	v_fma_f32 v67, v69, v46, -v129
	v_sub_f32_e32 v69, v63, v64
	v_dual_sub_f32 v109, v64, v63 :: v_dual_fmac_f32 v126, v113, v50
	v_sub_f32_e32 v125, v122, v124
	v_mul_f32_e32 v132, v110, v37
	v_fma_f32 v65, v65, v44, -v127
	v_dual_fmac_f32 v128, v66, v44 :: v_dual_sub_f32 v127, v63, v121
	v_fma_f32 v110, v110, v36, -v131
	v_fma_f32 v123, v114, v38, -v133
	v_add_f32_e32 v68, v64, v71
	v_dual_fmac_f32 v130, v70, v46 :: v_dual_sub_f32 v129, v64, v71
	v_dual_fmac_f32 v134, v115, v38 :: v_dual_add_f32 v113, v122, v124
	s_wait_dscnt 0x0
	v_dual_add_f32 v66, v116, v63 :: v_dual_sub_f32 v131, v126, v124
	v_dual_sub_f32 v115, v120, v126 :: v_dual_fmac_f32 v132, v111, v36
	v_dual_sub_f32 v70, v121, v71 :: v_dual_sub_f32 v135, v124, v126
	v_dual_sub_f32 v111, v71, v121 :: v_dual_add_f32 v112, v117, v120
	v_sub_f32_e32 v141, v123, v110
	v_dual_add_f32 v133, v120, v126 :: v_dual_add_f32 v108, v63, v121
	v_dual_sub_f32 v139, v130, v132 :: v_dual_sub_f32 v114, v120, v122
	v_sub_f32_e32 v143, v67, v65
	v_dual_add_f32 v136, v118, v65 :: v_dual_add_f32 v145, v119, v128
	v_dual_add_f32 v137, v67, v110 :: v_dual_sub_f32 v140, v65, v67
	v_sub_f32_e32 v149, v128, v130
	v_fma_f32 v63, -0.5, v68, v116
	v_dual_sub_f32 v120, v122, v120 :: v_dual_sub_f32 v147, v65, v123
	v_dual_sub_f32 v138, v128, v134 :: v_dual_add_f32 v153, v66, v64
	v_dual_add_f32 v142, v65, v123 :: v_dual_add_f32 v151, v128, v134
	v_dual_add_f32 v146, v130, v132 :: v_dual_add_f32 v155, v109, v111
	v_dual_add_f32 v154, v69, v70 :: v_dual_fmamk_f32 v69, v115, 0x3f737871, v63
	v_fma_f32 v65, -0.5, v108, v116
	v_dual_add_f32 v70, v112, v122 :: v_dual_add_f32 v71, v153, v71
	v_fma_f32 v64, -0.5, v113, v117
	v_fma_f32 v66, -0.5, v133, v117
	v_sub_f32_e32 v144, v110, v123
	v_dual_sub_f32 v148, v67, v110 :: v_dual_add_f32 v111, v136, v67
	v_dual_sub_f32 v150, v134, v132 :: v_dual_add_f32 v113, v145, v130
	v_sub_f32_e32 v128, v130, v128
	v_add_f32_e32 v122, v114, v131
	v_fma_f32 v67, -0.5, v137, v118
	v_add_f32_e32 v131, v140, v141
	v_dual_sub_f32 v152, v132, v134 :: v_dual_add_f32 v133, v143, v144
	v_fma_f32 v118, -0.5, v142, v118
	v_fma_f32 v68, -0.5, v146, v119
	v_fmac_f32_e32 v119, -0.5, v151
	v_fmamk_f32 v108, v125, 0xbf737871, v65
	v_dual_fmac_f32 v65, 0x3f737871, v125 :: v_dual_add_f32 v116, v70, v124
	v_fmamk_f32 v70, v127, 0xbf737871, v64
	v_dual_add_f32 v120, v120, v135 :: v_dual_fmamk_f32 v109, v129, 0x3f737871, v66
	v_fmac_f32_e32 v64, 0x3f737871, v127
	v_dual_add_f32 v130, v149, v150 :: v_dual_fmac_f32 v63, 0xbf737871, v115
	v_dual_add_f32 v128, v128, v152 :: v_dual_add_f32 v117, v111, v110
	v_dual_add_f32 v124, v113, v132 :: v_dual_fmac_f32 v69, 0x3f167918, v125
	v_fmamk_f32 v110, v138, 0x3f737871, v67
	v_dual_fmac_f32 v67, 0xbf737871, v138 :: v_dual_fmac_f32 v66, 0xbf737871, v129
	v_fmamk_f32 v112, v139, 0xbf737871, v118
	v_fmac_f32_e32 v118, 0x3f737871, v139
	v_fmamk_f32 v111, v147, 0xbf737871, v68
	v_dual_fmac_f32 v68, 0x3f737871, v147 :: v_dual_fmamk_f32 v113, v148, 0x3f737871, v119
	v_dual_fmac_f32 v119, 0xbf737871, v148 :: v_dual_add_f32 v114, v71, v121
	v_dual_fmac_f32 v65, 0xbf167918, v115 :: v_dual_fmac_f32 v70, 0xbf167918, v129
	v_fmac_f32_e32 v109, 0xbf167918, v127
	v_fmac_f32_e32 v108, 0x3f167918, v115
	s_delay_alu instid0(VALU_DEP_4)
	v_dual_fmac_f32 v64, 0x3f167918, v129 :: v_dual_fmac_f32 v119, 0x3f167918, v147
	v_fmac_f32_e32 v63, 0xbf167918, v125
	v_dual_add_f32 v115, v116, v126 :: v_dual_add_f32 v116, v117, v123
	v_fmac_f32_e32 v66, 0x3f167918, v127
	v_dual_fmac_f32 v67, 0xbf167918, v139 :: v_dual_fmac_f32 v118, 0xbf167918, v138
	v_fmac_f32_e32 v112, 0x3f167918, v138
	v_dual_add_f32 v117, v124, v134 :: v_dual_fmac_f32 v110, 0x3f167918, v139
	v_fmac_f32_e32 v111, 0xbf167918, v148
	v_fmac_f32_e32 v68, 0x3f167918, v148
	;; [unrolled: 1-line block ×3, first 2 shown]
	v_dual_fmac_f32 v69, 0x3e9e377a, v154 :: v_dual_fmac_f32 v108, 0x3e9e377a, v155
	v_dual_fmac_f32 v65, 0x3e9e377a, v155 :: v_dual_fmac_f32 v70, 0x3e9e377a, v122
	;; [unrolled: 1-line block ×8, first 2 shown]
	ds_store_b64 v96, v[69:70] offset:1760
	ds_store_b64 v96, v[108:109] offset:3520
	;; [unrolled: 1-line block ×4, first 2 shown]
	ds_store_2addr_b64 v96, v[114:115], v[116:117] offset1:110
	ds_store_b64 v96, v[110:111] offset:2640
	ds_store_b64 v96, v[112:113] offset:4400
	;; [unrolled: 1-line block ×4, first 2 shown]
	global_wb scope:SCOPE_SE
	s_wait_dscnt 0x0
	s_barrier_signal -1
	s_barrier_wait -1
	global_inv scope:SCOPE_SE
	global_load_b64 v[54:55], v[54:55], off offset:8800
	v_lshlrev_b32_e32 v63, 3, v95
	s_clause 0x8
	global_load_b64 v[122:123], v63, s[2:3] offset:880
	global_load_b64 v[124:125], v63, s[2:3] offset:4400
	;; [unrolled: 1-line block ×9, first 2 shown]
	ds_load_2addr_b64 v[63:66], v96 offset1:110
	v_add_nc_u32_e32 v109, 0x800, v96
	s_wait_loadcnt_dscnt 0x900
	v_mul_f32_e32 v67, v64, v55
	v_mul_f32_e32 v68, v63, v55
	s_wait_loadcnt 0x8
	v_mul_f32_e32 v55, v65, v123
	s_delay_alu instid0(VALU_DEP_3) | instskip(NEXT) | instid1(VALU_DEP_3)
	v_fma_f32 v67, v63, v54, -v67
	v_fmac_f32_e32 v68, v64, v54
	v_mul_f32_e32 v54, v66, v123
	s_delay_alu instid0(VALU_DEP_4)
	v_fmac_f32_e32 v55, v66, v122
	ds_store_b64 v96, v[67:68]
	ds_load_2addr_b64 v[67:70], v62 offset0:56 offset1:166
	ds_load_2addr_b64 v[110:113], v61 offset0:20 offset1:130
	;; [unrolled: 1-line block ×4, first 2 shown]
	v_add_nc_u32_e32 v108, 0x1000, v96
	v_fma_f32 v54, v65, v122, -v54
	s_wait_loadcnt_dscnt 0x703
	v_mul_f32_e32 v63, v70, v125
	s_wait_loadcnt_dscnt 0x602
	v_dual_mul_f32 v65, v111, v127 :: v_dual_mul_f32 v64, v69, v125
	s_wait_loadcnt 0x4
	v_mul_f32_e32 v123, v112, v131
	v_mul_f32_e32 v66, v110, v127
	s_wait_loadcnt_dscnt 0x200
	v_dual_mul_f32 v122, v115, v129 :: v_dual_mul_f32 v127, v118, v135
	v_dual_mul_f32 v71, v114, v129 :: v_dual_mul_f32 v140, v113, v131
	s_wait_loadcnt 0x1
	v_mul_f32_e32 v129, v67, v137
	v_mul_f32_e32 v141, v117, v133
	;; [unrolled: 1-line block ×3, first 2 shown]
	v_dual_mul_f32 v133, v119, v135 :: v_dual_fmac_f32 v64, v70, v124
	v_mul_f32_e32 v135, v68, v137
	s_wait_loadcnt 0x0
	v_dual_mul_f32 v137, v121, v139 :: v_dual_fmac_f32 v66, v111, v126
	v_mul_f32_e32 v131, v120, v139
	v_fma_f32 v63, v69, v124, -v63
	v_fma_f32 v65, v110, v126, -v65
	;; [unrolled: 1-line block ×3, first 2 shown]
	v_fmac_f32_e32 v71, v115, v128
	v_fma_f32 v122, v112, v130, -v140
	v_fmac_f32_e32 v123, v113, v130
	v_fma_f32 v126, v118, v134, -v133
	v_fmac_f32_e32 v127, v119, v134
	v_fma_f32 v124, v116, v132, -v141
	v_fmac_f32_e32 v125, v117, v132
	v_fma_f32 v128, v67, v136, -v135
	v_fmac_f32_e32 v129, v68, v136
	v_fma_f32 v130, v120, v138, -v137
	v_fmac_f32_e32 v131, v121, v138
	ds_store_2addr_b64 v108, v[63:64], v[65:66] offset0:38 offset1:148
	ds_store_2addr_b64 v96, v[54:55], v[70:71] offset0:110 offset1:220
	;; [unrolled: 1-line block ×4, first 2 shown]
	ds_store_b64 v96, v[130:131] offset:7920
	global_wb scope:SCOPE_SE
	s_wait_dscnt 0x0
	s_barrier_signal -1
	s_barrier_wait -1
	global_inv scope:SCOPE_SE
	ds_load_2addr_b64 v[63:66], v96 offset1:110
	ds_load_2addr_b64 v[67:70], v62 offset0:56 offset1:166
	ds_load_2addr_b64 v[110:113], v61 offset0:20 offset1:130
	;; [unrolled: 1-line block ×4, first 2 shown]
	global_wb scope:SCOPE_SE
	s_wait_dscnt 0x0
	s_barrier_signal -1
	s_barrier_wait -1
	global_inv scope:SCOPE_SE
	v_dual_sub_f32 v122, v63, v69 :: v_dual_sub_f32 v123, v64, v70
	v_dual_sub_f32 v126, v65, v110 :: v_dual_sub_f32 v127, v66, v111
	;; [unrolled: 1-line block ×5, first 2 shown]
	v_fma_f32 v120, v63, 2.0, -v122
	v_fma_f32 v121, v64, 2.0, -v123
	;; [unrolled: 1-line block ×10, first 2 shown]
	ds_store_b128 v57, v[120:123]
	ds_store_b128 v56, v[124:127]
	;; [unrolled: 1-line block ×5, first 2 shown]
	global_wb scope:SCOPE_SE
	s_wait_dscnt 0x0
	s_barrier_signal -1
	s_barrier_wait -1
	global_inv scope:SCOPE_SE
	ds_load_2addr_b64 v[68:71], v62 offset0:56 offset1:166
	ds_load_2addr_b64 v[54:57], v61 offset0:20 offset1:130
	;; [unrolled: 1-line block ×3, first 2 shown]
	ds_load_2addr_b64 v[110:113], v96 offset1:110
	ds_load_2addr_b64 v[114:117], v107 offset0:92 offset1:202
	global_wb scope:SCOPE_SE
	s_wait_dscnt 0x0
	s_barrier_signal -1
	s_barrier_wait -1
	global_inv scope:SCOPE_SE
	v_mul_f32_e32 v62, v53, v71
	v_mul_f32_e32 v64, v53, v55
	;; [unrolled: 1-line block ×7, first 2 shown]
	v_fmac_f32_e32 v120, v52, v60
	v_fmac_f32_e32 v62, v52, v70
	;; [unrolled: 1-line block ×3, first 2 shown]
	v_mul_f32_e32 v65, v53, v54
	v_fmac_f32_e32 v119, v52, v58
	v_mul_f32_e32 v67, v53, v58
	v_dual_mul_f32 v53, v53, v60 :: v_dual_sub_f32 v54, v110, v62
	v_fma_f32 v63, v52, v71, -v63
	v_fmac_f32_e32 v118, v52, v56
	v_fma_f32 v56, v52, v57, -v66
	v_sub_f32_e32 v66, v112, v64
	v_fma_f32 v65, v52, v55, -v65
	v_sub_f32_e32 v62, v116, v119
	v_fma_f32 v57, v52, v59, -v67
	v_fma_f32 v52, v52, v61, -v53
	v_dual_sub_f32 v55, v111, v63 :: v_dual_sub_f32 v58, v114, v118
	v_dual_sub_f32 v67, v113, v65 :: v_dual_sub_f32 v70, v68, v120
	v_sub_f32_e32 v59, v115, v56
	v_sub_f32_e32 v63, v117, v57
	;; [unrolled: 1-line block ×3, first 2 shown]
	v_fma_f32 v52, v110, 2.0, -v54
	v_fma_f32 v53, v111, 2.0, -v55
	;; [unrolled: 1-line block ×10, first 2 shown]
	ds_store_2addr_b64 v103, v[52:53], v[54:55] offset1:2
	ds_store_2addr_b64 v102, v[64:65], v[66:67] offset1:2
	;; [unrolled: 1-line block ×5, first 2 shown]
	global_wb scope:SCOPE_SE
	s_wait_dscnt 0x0
	s_barrier_signal -1
	s_barrier_wait -1
	global_inv scope:SCOPE_SE
	s_and_saveexec_b32 s2, vcc_lo
	s_cbranch_execz .LBB0_7
; %bb.6:
	ds_load_2addr_b64 v[52:55], v96 offset1:100
	ds_load_2addr_b64 v[64:67], v107 offset0:72 offset1:172
	ds_load_2addr_b64 v[56:59], v109 offset0:144 offset1:244
	;; [unrolled: 1-line block ×4, first 2 shown]
	ds_load_b64 v[93:94], v96 offset:8000
.LBB0_7:
	s_wait_alu 0xfffe
	s_or_b32 exec_lo, exec_lo, s2
	global_wb scope:SCOPE_SE
	s_wait_dscnt 0x0
	s_barrier_signal -1
	s_barrier_wait -1
	global_inv scope:SCOPE_SE
	s_and_saveexec_b32 s2, vcc_lo
	s_cbranch_execz .LBB0_9
; %bb.8:
	v_dual_mul_f32 v99, v13, v55 :: v_dual_mul_f32 v100, v23, v94
	v_mul_f32_e32 v13, v13, v54
	s_delay_alu instid0(VALU_DEP_2) | instskip(SKIP_1) | instid1(VALU_DEP_4)
	v_dual_fmac_f32 v99, v12, v54 :: v_dual_mul_f32 v54, v15, v65
	v_mul_f32_e32 v23, v23, v93
	v_dual_fmac_f32 v100, v22, v93 :: v_dual_mul_f32 v93, v21, v71
	s_delay_alu instid0(VALU_DEP_3) | instskip(NEXT) | instid1(VALU_DEP_3)
	v_fmac_f32_e32 v54, v14, v64
	v_fma_f32 v22, v22, v94, -v23
	v_fma_f32 v23, v12, v55, -v13
	s_delay_alu instid0(VALU_DEP_4) | instskip(SKIP_2) | instid1(VALU_DEP_3)
	v_fmac_f32_e32 v93, v20, v70
	v_mul_f32_e32 v21, v21, v70
	v_dual_mul_f32 v70, v5, v67 :: v_dual_sub_f32 v13, v99, v100
	v_dual_mul_f32 v5, v5, v66 :: v_dual_sub_f32 v12, v54, v93
	s_delay_alu instid0(VALU_DEP_3) | instskip(SKIP_1) | instid1(VALU_DEP_4)
	v_fma_f32 v20, v20, v71, -v21
	v_mul_f32_e32 v71, v11, v69
	v_dual_mul_f32 v11, v11, v68 :: v_dual_fmac_f32 v70, v4, v66
	s_delay_alu instid0(VALU_DEP_4) | instskip(SKIP_4) | instid1(VALU_DEP_4)
	v_mul_f32_e32 v21, 0x3e903f40, v12
	v_dual_mul_f32 v15, v15, v64 :: v_dual_add_f32 v64, v22, v23
	v_mul_f32_e32 v55, 0xbf7d64f0, v13
	v_mul_f32_e32 v66, v7, v57
	v_fma_f32 v69, v10, v69, -v11
	v_fma_f32 v14, v14, v65, -v15
	;; [unrolled: 1-line block ×3, first 2 shown]
	v_dual_mul_f32 v4, v9, v62 :: v_dual_fmac_f32 v71, v10, v68
	v_dual_mul_f32 v68, v9, v63 :: v_dual_fmamk_f32 v15, v64, 0xbe11bafb, v55
	s_delay_alu instid0(VALU_DEP_4) | instskip(NEXT) | instid1(VALU_DEP_2)
	v_dual_add_f32 v65, v20, v14 :: v_dual_fmac_f32 v66, v6, v56
	v_dual_mul_f32 v5, v7, v56 :: v_dual_fmac_f32 v68, v8, v62
	s_delay_alu instid0(VALU_DEP_3) | instskip(NEXT) | instid1(VALU_DEP_3)
	v_add_f32_e32 v15, v53, v15
	v_fmamk_f32 v94, v65, 0xbf75a155, v21
	v_add_f32_e32 v10, v69, v67
	v_fma_f32 v62, v8, v63, -v4
	v_dual_sub_f32 v56, v66, v68 :: v_dual_mul_f32 v63, v1, v59
	s_delay_alu instid0(VALU_DEP_4)
	v_add_f32_e32 v4, v94, v15
	v_sub_f32_e32 v101, v70, v71
	v_mul_f32_e32 v1, v1, v58
	v_sub_f32_e32 v102, v23, v22
	v_dual_mul_f32 v94, v3, v61 :: v_dual_fmac_f32 v63, v0, v58
	v_sub_f32_e32 v108, v67, v69
	v_dual_mul_f32 v9, 0x3f68dda4, v101 :: v_dual_add_f32 v58, v100, v99
	v_fma_f32 v57, v6, v57, -v5
	s_delay_alu instid0(VALU_DEP_4) | instskip(SKIP_1) | instid1(VALU_DEP_4)
	v_fmac_f32_e32 v94, v2, v60
	v_dual_mul_f32 v3, v3, v60 :: v_dual_mul_f32 v8, 0xbf7d64f0, v102
	v_fmamk_f32 v5, v10, 0x3ed4b147, v9
	s_delay_alu instid0(VALU_DEP_4) | instskip(NEXT) | instid1(VALU_DEP_4)
	v_dual_add_f32 v15, v62, v57 :: v_dual_mul_f32 v6, 0xbf0a6770, v56
	v_dual_sub_f32 v60, v63, v94 :: v_dual_sub_f32 v103, v14, v20
	s_delay_alu instid0(VALU_DEP_4) | instskip(SKIP_1) | instid1(VALU_DEP_4)
	v_fma_f32 v61, v2, v61, -v3
	v_fma_f32 v59, v0, v59, -v1
	v_dual_add_f32 v4, v5, v4 :: v_dual_fmamk_f32 v5, v15, 0x3f575c64, v6
	v_add_f32_e32 v106, v93, v54
	v_fma_f32 v0, 0xbe11bafb, v58, -v8
	v_dual_mul_f32 v11, 0x3e903f40, v103 :: v_dual_add_f32 v110, v71, v70
	v_dual_mul_f32 v107, 0xbf4178ce, v60 :: v_dual_sub_f32 v112, v57, v62
	v_add_f32_e32 v109, v61, v59
	v_add_f32_e32 v4, v5, v4
	;; [unrolled: 1-line block ×3, first 2 shown]
	v_fma_f32 v1, 0xbf75a155, v106, -v11
	v_dual_mul_f32 v111, 0x3f68dda4, v108 :: v_dual_add_f32 v116, v94, v63
	v_dual_fmamk_f32 v2, v109, 0xbf27a4f4, v107 :: v_dual_add_f32 v113, v68, v66
	s_delay_alu instid0(VALU_DEP_3) | instskip(NEXT) | instid1(VALU_DEP_3)
	v_dual_add_f32 v0, v1, v0 :: v_dual_sub_f32 v115, v59, v61
	v_fma_f32 v3, 0x3ed4b147, v110, -v111
	s_delay_alu instid0(VALU_DEP_3) | instskip(SKIP_2) | instid1(VALU_DEP_4)
	v_dual_add_f32 v1, v2, v4 :: v_dual_mul_f32 v118, 0xbf4178ce, v101
	v_mul_f32_e32 v2, 0xbe903f40, v13
	v_mul_f32_e32 v125, 0x3f68dda4, v112
	v_dual_add_f32 v0, v3, v0 :: v_dual_fmac_f32 v11, 0xbf75a155, v106
	v_fmac_f32_e32 v111, 0x3ed4b147, v110
	s_delay_alu instid0(VALU_DEP_4)
	v_fmamk_f32 v3, v64, 0xbf75a155, v2
	v_mul_f32_e32 v114, 0xbf0a6770, v112
	v_fma_f32 v2, 0xbf75a155, v64, -v2
	v_mul_f32_e32 v121, 0x3f0a6770, v103
	v_mul_f32_e32 v129, 0xbe903f40, v112
	v_dual_add_f32 v3, v53, v3 :: v_dual_mul_f32 v4, 0x3f0a6770, v12
	v_fma_f32 v5, 0x3f575c64, v113, -v114
	v_dual_mul_f32 v117, 0xbf4178ce, v115 :: v_dual_add_f32 v2, v53, v2
	v_fma_f32 v123, 0x3f575c64, v106, -v121
	s_delay_alu instid0(VALU_DEP_4) | instskip(NEXT) | instid1(VALU_DEP_4)
	v_fmamk_f32 v7, v65, 0x3f575c64, v4
	v_add_f32_e32 v0, v5, v0
	s_delay_alu instid0(VALU_DEP_4)
	v_fma_f32 v5, 0xbf27a4f4, v116, -v117
	v_mul_f32_e32 v119, 0xbe903f40, v102
	v_fmac_f32_e32 v117, 0xbf27a4f4, v116
	v_add_f32_e32 v3, v7, v3
	v_fma_f32 v4, 0x3f575c64, v65, -v4
	v_add_f32_e32 v0, v5, v0
	v_fma_f32 v5, 0xbf75a155, v58, -v119
	v_fmac_f32_e32 v119, 0xbf75a155, v58
	s_delay_alu instid0(VALU_DEP_4) | instskip(SKIP_1) | instid1(VALU_DEP_4)
	v_dual_fmamk_f32 v7, v10, 0xbf27a4f4, v118 :: v_dual_add_f32 v2, v4, v2
	v_fma_f32 v4, 0xbf27a4f4, v10, -v118
	v_dual_mul_f32 v122, 0xbf7d64f0, v60 :: v_dual_add_f32 v5, v52, v5
	s_delay_alu instid0(VALU_DEP_4) | instskip(NEXT) | instid1(VALU_DEP_4)
	v_add_f32_e32 v118, v52, v119
	v_dual_mul_f32 v120, 0x3f68dda4, v56 :: v_dual_add_f32 v3, v7, v3
	s_delay_alu instid0(VALU_DEP_3) | instskip(SKIP_1) | instid1(VALU_DEP_3)
	v_dual_add_f32 v4, v4, v2 :: v_dual_add_f32 v5, v123, v5
	v_fmac_f32_e32 v8, 0xbe11bafb, v58
	v_fmamk_f32 v7, v15, 0x3ed4b147, v120
	v_mul_f32_e32 v124, 0xbf4178ce, v108
	v_fma_f32 v119, 0x3ed4b147, v15, -v120
	v_mul_f32_e32 v120, 0xbf27a4f4, v64
	v_dual_fmac_f32 v121, 0x3f575c64, v106 :: v_dual_add_f32 v8, v52, v8
	v_add_f32_e32 v3, v7, v3
	s_delay_alu instid0(VALU_DEP_4) | instskip(SKIP_2) | instid1(VALU_DEP_3)
	v_dual_fmamk_f32 v7, v109, 0xbe11bafb, v122 :: v_dual_add_f32 v4, v119, v4
	v_fma_f32 v123, 0xbf27a4f4, v110, -v124
	v_mul_f32_e32 v119, 0xbe11bafb, v65
	v_dual_fmac_f32 v124, 0xbf27a4f4, v110 :: v_dual_add_f32 v3, v7, v3
	v_fma_f32 v7, 0x3ed4b147, v113, -v125
	s_delay_alu instid0(VALU_DEP_4)
	v_add_f32_e32 v5, v123, v5
	v_mul_f32_e32 v123, 0xbf7d64f0, v115
	v_mul_f32_e32 v128, 0xbf0a6770, v108
	v_add_f32_e32 v8, v11, v8
	v_mul_f32_e32 v126, 0x3ed4b147, v109
	v_add_f32_e32 v5, v7, v5
	v_fma_f32 v7, 0xbe11bafb, v116, -v123
	v_fmac_f32_e32 v114, 0x3f575c64, v113
	v_add_f32_e32 v8, v111, v8
	v_fma_f32 v55, 0xbe11bafb, v64, -v55
	v_fma_f32 v21, 0xbf75a155, v65, -v21
	v_dual_add_f32 v2, v7, v5 :: v_dual_add_f32 v5, v121, v118
	v_fma_f32 v7, 0xbe11bafb, v109, -v122
	v_fmamk_f32 v118, v13, 0x3f4178ce, v120
	v_fmac_f32_e32 v125, 0x3ed4b147, v113
	s_delay_alu instid0(VALU_DEP_4) | instskip(NEXT) | instid1(VALU_DEP_3)
	v_dual_mul_f32 v122, 0xbf4178ce, v102 :: v_dual_add_f32 v121, v124, v5
	v_dual_add_f32 v5, v7, v4 :: v_dual_add_f32 v4, v53, v118
	v_fmamk_f32 v7, v12, 0xbf7d64f0, v119
	s_delay_alu instid0(VALU_DEP_3) | instskip(SKIP_2) | instid1(VALU_DEP_3)
	v_dual_mul_f32 v118, 0x3f575c64, v10 :: v_dual_add_f32 v121, v125, v121
	v_fmac_f32_e32 v123, 0xbe11bafb, v116
	v_mul_f32_e32 v125, 0xbf75a155, v15
	v_dual_add_f32 v7, v7, v4 :: v_dual_fmamk_f32 v124, v101, 0x3f0a6770, v118
	v_add_f32_e32 v8, v114, v8
	s_delay_alu instid0(VALU_DEP_4) | instskip(SKIP_1) | instid1(VALU_DEP_4)
	v_dual_add_f32 v4, v123, v121 :: v_dual_fmamk_f32 v121, v58, 0xbf27a4f4, v122
	v_mul_f32_e32 v123, 0x3f7d64f0, v103
	v_add_f32_e32 v7, v124, v7
	v_fmamk_f32 v124, v56, 0x3e903f40, v125
	s_delay_alu instid0(VALU_DEP_4) | instskip(NEXT) | instid1(VALU_DEP_4)
	v_dual_add_f32 v8, v117, v8 :: v_dual_add_f32 v121, v52, v121
	v_fmamk_f32 v127, v106, 0xbe11bafb, v123
	s_delay_alu instid0(VALU_DEP_3) | instskip(SKIP_1) | instid1(VALU_DEP_3)
	v_dual_mul_f32 v132, 0x3e903f40, v108 :: v_dual_add_f32 v7, v124, v7
	v_dual_fmamk_f32 v124, v60, 0xbf68dda4, v126 :: v_dual_add_f32 v55, v53, v55
	v_add_f32_e32 v121, v127, v121
	v_fmamk_f32 v127, v110, 0x3f575c64, v128
	v_fma_f32 v9, 0x3ed4b147, v10, -v9
	s_delay_alu instid0(VALU_DEP_4) | instskip(SKIP_1) | instid1(VALU_DEP_4)
	v_dual_add_f32 v7, v124, v7 :: v_dual_fmamk_f32 v124, v113, 0xbf75a155, v129
	v_dual_add_f32 v21, v21, v55 :: v_dual_mul_f32 v136, 0xbe11bafb, v10
	v_dual_add_f32 v121, v127, v121 :: v_dual_mul_f32 v130, 0xbf4178ce, v103
	v_mul_f32_e32 v127, 0x3f68dda4, v115
	v_mul_f32_e32 v117, 0x3f7d64f0, v112
	s_delay_alu instid0(VALU_DEP_4) | instskip(NEXT) | instid1(VALU_DEP_4)
	v_dual_add_f32 v9, v9, v21 :: v_dual_mul_f32 v134, 0x3f0a6770, v115
	v_add_f32_e32 v55, v124, v121
	s_delay_alu instid0(VALU_DEP_4) | instskip(SKIP_2) | instid1(VALU_DEP_3)
	v_dual_fmamk_f32 v121, v116, 0x3ed4b147, v127 :: v_dual_mul_f32 v124, 0x3ed4b147, v64
	v_fma_f32 v21, 0x3f575c64, v15, -v6
	v_mul_f32_e32 v111, 0xbf75a155, v10
	v_dual_fmamk_f32 v131, v106, 0xbf27a4f4, v130 :: v_dual_add_f32 v6, v121, v55
	s_delay_alu instid0(VALU_DEP_4)
	v_fmamk_f32 v11, v13, 0x3f68dda4, v124
	v_mul_f32_e32 v55, 0xbf27a4f4, v65
	v_add_f32_e32 v9, v21, v9
	v_fma_f32 v21, 0xbf27a4f4, v109, -v107
	v_mul_f32_e32 v121, 0xbf68dda4, v102
	v_add_f32_e32 v11, v53, v11
	v_fmamk_f32 v107, v12, 0x3f4178ce, v55
	v_fmac_f32_e32 v120, 0xbf4178ce, v13
	v_dual_add_f32 v9, v21, v9 :: v_dual_mul_f32 v102, 0xbf0a6770, v102
	v_fmamk_f32 v21, v101, 0xbe903f40, v111
	s_delay_alu instid0(VALU_DEP_4) | instskip(SKIP_3) | instid1(VALU_DEP_4)
	v_add_f32_e32 v11, v107, v11
	v_mul_f32_e32 v107, 0xbe11bafb, v15
	v_fmamk_f32 v114, v58, 0x3ed4b147, v121
	v_fmac_f32_e32 v124, 0xbf68dda4, v13
	v_dual_fmac_f32 v126, 0x3f68dda4, v60 :: v_dual_add_f32 v11, v21, v11
	s_delay_alu instid0(VALU_DEP_4) | instskip(NEXT) | instid1(VALU_DEP_4)
	v_fmamk_f32 v21, v56, 0xbf7d64f0, v107
	v_add_f32_e32 v114, v52, v114
	v_mul_f32_e32 v64, 0x3f575c64, v64
	v_fmac_f32_e32 v118, 0xbf0a6770, v101
	v_mul_f32_e32 v65, 0x3ed4b147, v65
	v_add_f32_e32 v11, v21, v11
	v_dual_add_f32 v21, v131, v114 :: v_dual_fmamk_f32 v114, v110, 0xbf75a155, v132
	v_mul_f32_e32 v131, 0x3f575c64, v109
	v_fmamk_f32 v133, v13, 0x3f0a6770, v64
	v_fmamk_f32 v135, v12, 0x3f68dda4, v65
	v_mul_f32_e32 v103, 0xbf68dda4, v103
	v_dual_add_f32 v21, v114, v21 :: v_dual_fmamk_f32 v114, v113, 0xbe11bafb, v117
	v_fmamk_f32 v10, v60, 0xbf0a6770, v131
	v_fmac_f32_e32 v125, 0xbe903f40, v56
	v_fmac_f32_e32 v119, 0x3f7d64f0, v12
	;; [unrolled: 1-line block ×3, first 2 shown]
	v_dual_add_f32 v21, v114, v21 :: v_dual_fmamk_f32 v114, v116, 0x3f575c64, v134
	v_add_f32_e32 v11, v10, v11
	s_delay_alu instid0(VALU_DEP_2) | instskip(SKIP_3) | instid1(VALU_DEP_3)
	v_dual_fmac_f32 v65, 0xbf68dda4, v12 :: v_dual_add_f32 v10, v114, v21
	v_dual_add_f32 v21, v23, v53 :: v_dual_mul_f32 v114, 0xbf27a4f4, v15
	v_add_f32_e32 v133, v53, v133
	v_fmamk_f32 v15, v58, 0x3f575c64, v102
	v_dual_fmac_f32 v55, 0xbf4178ce, v12 :: v_dual_add_f32 v14, v14, v21
	v_add_f32_e32 v21, v52, v99
	v_fmamk_f32 v99, v56, 0x3f4178ce, v114
	v_dual_fmac_f32 v114, 0xbf4178ce, v56 :: v_dual_add_f32 v133, v135, v133
	s_delay_alu instid0(VALU_DEP_4) | instskip(NEXT) | instid1(VALU_DEP_1)
	v_dual_add_f32 v14, v67, v14 :: v_dual_add_f32 v15, v52, v15
	v_dual_mul_f32 v67, 0xbf4178ce, v112 :: v_dual_add_f32 v14, v57, v14
	s_delay_alu instid0(VALU_DEP_1) | instskip(NEXT) | instid1(VALU_DEP_1)
	v_dual_add_f32 v14, v59, v14 :: v_dual_mul_f32 v59, 0xbe903f40, v115
	v_dual_add_f32 v14, v61, v14 :: v_dual_fmac_f32 v107, 0x3f7d64f0, v56
	v_fma_f32 v56, 0x3f575c64, v116, -v134
	v_fmamk_f32 v135, v101, 0x3f7d64f0, v136
	v_fmac_f32_e32 v136, 0xbf7d64f0, v101
	v_dual_add_f32 v21, v54, v21 :: v_dual_mul_f32 v54, 0xbf7d64f0, v108
	s_delay_alu instid0(VALU_DEP_3) | instskip(SKIP_1) | instid1(VALU_DEP_3)
	v_dual_add_f32 v62, v62, v14 :: v_dual_add_f32 v23, v135, v133
	v_fmamk_f32 v133, v106, 0x3ed4b147, v103
	v_add_f32_e32 v21, v70, v21
	s_delay_alu instid0(VALU_DEP_4) | instskip(NEXT) | instid1(VALU_DEP_4)
	v_fmamk_f32 v57, v110, 0xbe11bafb, v54
	v_dual_mul_f32 v70, 0xbf75a155, v109 :: v_dual_add_f32 v23, v99, v23
	s_delay_alu instid0(VALU_DEP_4) | instskip(NEXT) | instid1(VALU_DEP_4)
	v_add_f32_e32 v15, v133, v15
	v_add_f32_e32 v21, v66, v21
	s_delay_alu instid0(VALU_DEP_3) | instskip(NEXT) | instid1(VALU_DEP_3)
	v_fmamk_f32 v61, v60, 0x3e903f40, v70
	v_dual_fmac_f32 v70, 0xbe903f40, v60 :: v_dual_add_f32 v15, v57, v15
	v_fmamk_f32 v57, v113, 0xbf27a4f4, v67
	s_delay_alu instid0(VALU_DEP_4) | instskip(SKIP_1) | instid1(VALU_DEP_3)
	v_add_f32_e32 v21, v63, v21
	v_fmamk_f32 v63, v116, 0xbf75a155, v59
	v_add_f32_e32 v57, v57, v15
	s_delay_alu instid0(VALU_DEP_3) | instskip(SKIP_2) | instid1(VALU_DEP_4)
	v_add_f32_e32 v21, v94, v21
	v_add_f32_e32 v15, v61, v23
	;; [unrolled: 1-line block ×3, first 2 shown]
	v_dual_add_f32 v61, v53, v120 :: v_dual_add_f32 v14, v63, v57
	s_delay_alu instid0(VALU_DEP_4) | instskip(SKIP_1) | instid1(VALU_DEP_4)
	v_add_f32_e32 v21, v68, v21
	v_fma_f32 v57, 0xbf27a4f4, v58, -v122
	v_add_f32_e32 v20, v20, v23
	v_fma_f32 v62, 0xbe11bafb, v106, -v123
	v_add_f32_e32 v61, v119, v61
	v_add_f32_e32 v23, v71, v21
	;; [unrolled: 1-line block ×4, first 2 shown]
	v_fmac_f32_e32 v111, 0x3e903f40, v101
	v_fma_f32 v63, 0x3ed4b147, v116, -v127
	v_add_f32_e32 v20, v93, v23
	v_add_f32_e32 v22, v62, v57
	v_fma_f32 v23, 0x3f575c64, v110, -v128
	v_add_f32_e32 v57, v118, v61
	v_add_f32_e32 v61, v53, v124
	v_fma_f32 v62, 0x3ed4b147, v58, -v121
	v_fma_f32 v58, 0x3f575c64, v58, -v102
	v_add_f32_e32 v22, v23, v22
	v_fma_f32 v23, 0xbf75a155, v113, -v129
	v_add_f32_e32 v57, v125, v57
	v_add_f32_e32 v55, v55, v61
	v_fma_f32 v61, 0xbf27a4f4, v106, -v130
	s_delay_alu instid0(VALU_DEP_4) | instskip(NEXT) | instid1(VALU_DEP_4)
	v_dual_add_f32 v53, v53, v64 :: v_dual_add_f32 v22, v23, v22
	v_add_f32_e32 v23, v126, v57
	v_add_f32_e32 v57, v52, v62
	;; [unrolled: 1-line block ×3, first 2 shown]
	s_delay_alu instid0(VALU_DEP_4) | instskip(SKIP_1) | instid1(VALU_DEP_4)
	v_dual_add_f32 v53, v65, v53 :: v_dual_add_f32 v22, v63, v22
	v_fmac_f32_e32 v131, 0x3f0a6770, v60
	v_add_f32_e32 v13, v61, v57
	v_fma_f32 v57, 0xbf75a155, v110, -v132
	s_delay_alu instid0(VALU_DEP_4) | instskip(SKIP_1) | instid1(VALU_DEP_3)
	v_add_f32_e32 v53, v136, v53
	v_dual_add_f32 v55, v107, v55 :: v_dual_add_f32 v20, v100, v20
	v_dual_add_f32 v12, v57, v13 :: v_dual_add_f32 v13, v52, v58
	v_fma_f32 v52, 0x3ed4b147, v106, -v103
	v_fma_f32 v57, 0xbe11bafb, v113, -v117
	v_add_f32_e32 v53, v114, v53
	s_delay_alu instid0(VALU_DEP_3)
	v_add_f32_e32 v13, v52, v13
	v_fma_f32 v52, 0xbe11bafb, v110, -v54
	v_mul_u32_u24_e32 v54, 44, v98
	v_add_f32_e32 v12, v57, v12
	v_fma_f32 v57, 0xbf75a155, v116, -v59
	v_add_f32_e32 v53, v70, v53
	v_add_f32_e32 v13, v52, v13
	v_fma_f32 v52, 0xbf27a4f4, v113, -v67
	v_add_f32_e32 v12, v56, v12
	v_or_b32_e32 v54, v54, v97
	s_delay_alu instid0(VALU_DEP_3) | instskip(NEXT) | instid1(VALU_DEP_2)
	v_dual_add_f32 v52, v52, v13 :: v_dual_add_f32 v13, v131, v55
	v_lshlrev_b32_e32 v54, 3, v54
	s_delay_alu instid0(VALU_DEP_2)
	v_add_f32_e32 v52, v57, v52
	ds_store_2addr_b64 v54, v[20:21], v[14:15] offset1:4
	ds_store_2addr_b64 v54, v[10:11], v[8:9] offset0:8 offset1:12
	ds_store_2addr_b64 v54, v[6:7], v[4:5] offset0:16 offset1:20
	;; [unrolled: 1-line block ×4, first 2 shown]
	ds_store_b64 v54, v[52:53] offset:320
.LBB0_9:
	s_wait_alu 0xfffe
	s_or_b32 exec_lo, exec_lo, s2
	v_add_nc_u32_e32 v1, 0x400, v96
	v_add_nc_u32_e32 v3, 0xc00, v96
	;; [unrolled: 1-line block ×4, first 2 shown]
	global_wb scope:SCOPE_SE
	s_wait_dscnt 0x0
	s_barrier_signal -1
	s_barrier_wait -1
	global_inv scope:SCOPE_SE
	ds_load_2addr_b64 v[4:7], v1 offset0:92 offset1:202
	ds_load_2addr_b64 v[8:11], v3 offset0:56 offset1:166
	;; [unrolled: 1-line block ×4, first 2 shown]
	ds_load_2addr_b64 v[52:55], v96 offset1:110
	global_wb scope:SCOPE_SE
	s_wait_dscnt 0x0
	s_barrier_signal -1
	s_barrier_wait -1
	global_inv scope:SCOPE_SE
	s_mov_b32 s2, 0xdca01dca
	s_mov_b32 s3, 0x3f4dca01
	v_mul_f32_e32 v57, v35, v9
	v_mul_f32_e32 v58, v29, v13
	;; [unrolled: 1-line block ×5, first 2 shown]
	v_dual_mul_f32 v35, v35, v8 :: v_dual_mul_f32 v60, v25, v7
	v_mul_f32_e32 v29, v29, v12
	s_delay_alu instid0(VALU_DEP_4)
	v_dual_mul_f32 v25, v25, v6 :: v_dual_fmac_f32 v56, v32, v4
	v_dual_mul_f32 v61, v27, v11 :: v_dual_fmac_f32 v58, v28, v12
	v_fmac_f32_e32 v57, v34, v8
	v_mul_f32_e32 v31, v31, v20
	v_mul_f32_e32 v4, v27, v10
	v_fma_f32 v32, v32, v5, -v33
	v_fma_f32 v33, v34, v9, -v35
	v_dual_fmac_f32 v59, v30, v20 :: v_dual_fmac_f32 v60, v24, v6
	v_fma_f32 v28, v28, v13, -v29
	v_fma_f32 v24, v24, v7, -v25
	;; [unrolled: 1-line block ×3, first 2 shown]
	v_add_f32_e32 v4, v57, v58
	v_fma_f32 v20, v30, v21, -v31
	v_dual_fmac_f32 v61, v26, v10 :: v_dual_add_f32 v6, v52, v56
	v_mul_f32_e32 v12, v19, v22
	s_delay_alu instid0(VALU_DEP_4) | instskip(NEXT) | instid1(VALU_DEP_4)
	v_fma_f32 v4, -0.5, v4, v52
	v_sub_f32_e32 v7, v32, v20
	v_sub_f32_e32 v9, v33, v28
	v_mul_f32_e32 v5, v17, v14
	s_delay_alu instid0(VALU_DEP_1) | instskip(NEXT) | instid1(VALU_DEP_4)
	v_fma_f32 v26, v16, v15, -v5
	v_dual_add_f32 v5, v6, v57 :: v_dual_fmamk_f32 v6, v7, 0xbf737871, v4
	v_dual_sub_f32 v8, v56, v57 :: v_dual_mul_f32 v21, v17, v15
	v_sub_f32_e32 v10, v59, v58
	v_fmac_f32_e32 v4, 0x3f737871, v7
	s_delay_alu instid0(VALU_DEP_4) | instskip(NEXT) | instid1(VALU_DEP_3)
	v_dual_fmac_f32 v6, 0xbf167918, v9 :: v_dual_add_f32 v11, v56, v59
	v_add_f32_e32 v13, v8, v10
	v_mul_f32_e32 v17, v19, v23
	v_fma_f32 v19, v18, v23, -v12
	s_delay_alu instid0(VALU_DEP_4) | instskip(NEXT) | instid1(VALU_DEP_4)
	v_fma_f32 v8, -0.5, v11, v52
	v_dual_sub_f32 v11, v58, v59 :: v_dual_fmac_f32 v6, 0x3e9e377a, v13
	s_delay_alu instid0(VALU_DEP_2) | instskip(NEXT) | instid1(VALU_DEP_1)
	v_dual_fmac_f32 v17, v18, v22 :: v_dual_fmamk_f32 v12, v9, 0x3f737871, v8
	v_dual_fmac_f32 v12, 0xbf167918, v7 :: v_dual_add_f32 v5, v5, v58
	v_dual_fmac_f32 v8, 0xbf737871, v9 :: v_dual_fmac_f32 v21, v16, v14
	v_fmac_f32_e32 v4, 0x3f167918, v9
	v_add_f32_e32 v14, v53, v32
	s_delay_alu instid0(VALU_DEP_4) | instskip(SKIP_1) | instid1(VALU_DEP_4)
	v_add_f32_e32 v10, v5, v59
	v_dual_sub_f32 v5, v57, v56 :: v_dual_sub_f32 v16, v32, v33
	v_fmac_f32_e32 v4, 0x3e9e377a, v13
	s_delay_alu instid0(VALU_DEP_4) | instskip(SKIP_1) | instid1(VALU_DEP_4)
	v_dual_add_f32 v9, v14, v33 :: v_dual_fmac_f32 v8, 0x3f167918, v7
	v_sub_f32_e32 v14, v57, v58
	v_add_f32_e32 v11, v5, v11
	v_add_f32_e32 v15, v33, v28
	s_delay_alu instid0(VALU_DEP_4) | instskip(SKIP_1) | instid1(VALU_DEP_4)
	v_add_f32_e32 v13, v9, v28
	v_dual_add_f32 v9, v32, v20 :: v_dual_add_f32 v22, v61, v21
	v_fmac_f32_e32 v12, 0x3e9e377a, v11
	s_delay_alu instid0(VALU_DEP_4)
	v_fma_f32 v5, -0.5, v15, v53
	v_sub_f32_e32 v15, v56, v59
	v_sub_f32_e32 v18, v20, v28
	v_fmac_f32_e32 v8, 0x3e9e377a, v11
	v_fma_f32 v9, -0.5, v9, v53
	v_add_f32_e32 v11, v13, v20
	v_sub_f32_e32 v20, v28, v20
	v_add_f32_e32 v16, v16, v18
	v_dual_sub_f32 v18, v33, v32 :: v_dual_fmamk_f32 v7, v15, 0x3f737871, v5
	v_fmac_f32_e32 v5, 0xbf737871, v15
	v_fmamk_f32 v13, v14, 0xbf737871, v9
	s_delay_alu instid0(VALU_DEP_3) | instskip(NEXT) | instid1(VALU_DEP_4)
	v_dual_sub_f32 v27, v17, v21 :: v_dual_add_f32 v18, v18, v20
	v_fmac_f32_e32 v7, 0x3f167918, v14
	s_delay_alu instid0(VALU_DEP_4) | instskip(SKIP_2) | instid1(VALU_DEP_4)
	v_dual_fmac_f32 v5, 0xbf167918, v14 :: v_dual_add_f32 v20, v54, v60
	v_fmac_f32_e32 v9, 0x3f737871, v14
	v_fma_f32 v14, -0.5, v22, v54
	v_dual_fmac_f32 v7, 0x3e9e377a, v16 :: v_dual_sub_f32 v22, v24, v19
	v_dual_fmac_f32 v13, 0x3f167918, v15 :: v_dual_add_f32 v28, v60, v17
	s_delay_alu instid0(VALU_DEP_4) | instskip(SKIP_2) | instid1(VALU_DEP_4)
	v_fmac_f32_e32 v9, 0xbf167918, v15
	v_add_f32_e32 v15, v20, v61
	v_sub_f32_e32 v20, v60, v61
	v_fma_f32 v54, -0.5, v28, v54
	v_sub_f32_e32 v28, v21, v17
	s_delay_alu instid0(VALU_DEP_4) | instskip(SKIP_4) | instid1(VALU_DEP_1)
	v_add_f32_e32 v15, v15, v21
	v_fmac_f32_e32 v5, 0x3e9e377a, v16
	v_fmamk_f32 v16, v22, 0xbf737871, v14
	v_fmac_f32_e32 v14, 0x3f737871, v22
	v_dual_add_f32 v20, v20, v27 :: v_dual_sub_f32 v23, v25, v26
	v_dual_sub_f32 v27, v61, v60 :: v_dual_fmac_f32 v14, 0x3f167918, v23
	s_delay_alu instid0(VALU_DEP_1) | instskip(SKIP_1) | instid1(VALU_DEP_1)
	v_fmac_f32_e32 v14, 0x3e9e377a, v20
	v_fmac_f32_e32 v16, 0xbf167918, v23
	v_dual_fmac_f32 v13, 0x3e9e377a, v18 :: v_dual_fmac_f32 v16, 0x3e9e377a, v20
	v_fmamk_f32 v20, v23, 0x3f737871, v54
	v_dual_fmac_f32 v54, 0xbf737871, v23 :: v_dual_add_f32 v23, v55, v24
	v_dual_fmac_f32 v9, 0x3e9e377a, v18 :: v_dual_add_f32 v18, v15, v17
	v_add_f32_e32 v15, v25, v26
	s_delay_alu instid0(VALU_DEP_4) | instskip(NEXT) | instid1(VALU_DEP_4)
	v_dual_sub_f32 v29, v60, v17 :: v_dual_fmac_f32 v20, 0xbf167918, v22
	v_dual_add_f32 v27, v27, v28 :: v_dual_fmac_f32 v54, 0x3f167918, v22
	v_dual_add_f32 v22, v23, v25 :: v_dual_add_f32 v23, v24, v19
	v_sub_f32_e32 v28, v61, v21
	v_fma_f32 v15, -0.5, v15, v55
	s_delay_alu instid0(VALU_DEP_4) | instskip(SKIP_2) | instid1(VALU_DEP_4)
	v_fmac_f32_e32 v20, 0x3e9e377a, v27
	v_dual_fmac_f32 v54, 0x3e9e377a, v27 :: v_dual_sub_f32 v27, v19, v26
	v_fmac_f32_e32 v55, -0.5, v23
	v_dual_fmamk_f32 v17, v29, 0x3f737871, v15 :: v_dual_add_f32 v22, v22, v26
	v_sub_f32_e32 v23, v24, v25
	v_dual_fmac_f32 v15, 0xbf737871, v29 :: v_dual_sub_f32 v24, v25, v24
	s_delay_alu instid0(VALU_DEP_4)
	v_fmamk_f32 v21, v28, 0xbf737871, v55
	v_sub_f32_e32 v25, v26, v19
	v_fmac_f32_e32 v55, 0x3f737871, v28
	v_fmac_f32_e32 v17, 0x3f167918, v28
	v_add_f32_e32 v23, v23, v27
	v_fmac_f32_e32 v15, 0xbf167918, v28
	v_fmac_f32_e32 v21, 0x3f167918, v29
	v_add_f32_e32 v24, v24, v25
	v_fmac_f32_e32 v55, 0xbf167918, v29
	v_add_f32_e32 v19, v22, v19
	v_fmac_f32_e32 v17, 0x3e9e377a, v23
	v_fmac_f32_e32 v15, 0x3e9e377a, v23
	;; [unrolled: 1-line block ×4, first 2 shown]
	ds_store_2addr_b64 v105, v[10:11], v[6:7] offset1:44
	ds_store_2addr_b64 v105, v[12:13], v[8:9] offset0:88 offset1:132
	ds_store_b64 v105, v[4:5] offset:1408
	ds_store_2addr_b64 v104, v[18:19], v[16:17] offset1:44
	ds_store_2addr_b64 v104, v[20:21], v[54:55] offset0:88 offset1:132
	ds_store_b64 v104, v[14:15] offset:1408
	global_wb scope:SCOPE_SE
	s_wait_dscnt 0x0
	s_barrier_signal -1
	s_barrier_wait -1
	global_inv scope:SCOPE_SE
	ds_load_2addr_b64 v[4:7], v1 offset0:92 offset1:202
	ds_load_2addr_b64 v[8:11], v3 offset0:56 offset1:166
	;; [unrolled: 1-line block ×4, first 2 shown]
	ds_load_2addr_b64 v[20:23], v96 offset1:110
	s_wait_dscnt 0x4
	v_mul_f32_e32 v24, v41, v5
	s_wait_dscnt 0x3
	v_dual_mul_f32 v25, v41, v4 :: v_dual_mul_f32 v26, v43, v9
	s_wait_dscnt 0x1
	v_mul_f32_e32 v28, v51, v17
	v_mul_f32_e32 v32, v47, v11
	v_fmac_f32_e32 v24, v40, v4
	v_fma_f32 v25, v40, v5, -v25
	v_mul_f32_e32 v4, v43, v8
	v_fmac_f32_e32 v28, v50, v16
	v_mul_f32_e32 v5, v49, v12
	v_dual_mul_f32 v27, v49, v13 :: v_dual_fmac_f32 v26, v42, v8
	s_delay_alu instid0(VALU_DEP_4) | instskip(SKIP_1) | instid1(VALU_DEP_4)
	v_fma_f32 v29, v42, v9, -v4
	v_mul_f32_e32 v4, v51, v16
	v_fma_f32 v30, v48, v13, -v5
	v_mul_f32_e32 v5, v45, v6
	v_mul_f32_e32 v8, v47, v10
	v_fmac_f32_e32 v32, v46, v10
	v_fma_f32 v16, v50, v17, -v4
	v_sub_f32_e32 v9, v29, v30
	v_mul_f32_e32 v31, v45, v7
	v_fma_f32 v34, v46, v11, -v8
	v_sub_f32_e32 v8, v24, v26
	v_add_f32_e32 v11, v24, v28
	v_fma_f32 v33, v44, v7, -v5
	v_fmac_f32_e32 v31, v44, v6
	s_wait_dscnt 0x0
	v_add_f32_e32 v6, v20, v24
	v_dual_fmac_f32 v27, v48, v12 :: v_dual_mul_f32 v12, v39, v18
	s_delay_alu instid0(VALU_DEP_1) | instskip(SKIP_1) | instid1(VALU_DEP_2)
	v_dual_mul_f32 v5, v37, v14 :: v_dual_add_f32 v4, v26, v27
	v_sub_f32_e32 v10, v28, v27
	v_fma_f32 v4, -0.5, v4, v20
	s_delay_alu instid0(VALU_DEP_2)
	v_add_f32_e32 v13, v8, v10
	v_mul_f32_e32 v35, v37, v15
	v_fma_f32 v8, -0.5, v11, v20
	v_sub_f32_e32 v7, v25, v16
	v_mul_f32_e32 v17, v39, v19
	v_fma_f32 v19, v38, v19, -v12
	v_dual_fmac_f32 v35, v36, v14 :: v_dual_add_f32 v14, v21, v25
	v_fma_f32 v36, v36, v15, -v5
	v_dual_add_f32 v5, v6, v26 :: v_dual_fmamk_f32 v12, v9, 0x3f737871, v8
	v_fmac_f32_e32 v8, 0xbf737871, v9
	v_fmamk_f32 v6, v7, 0xbf737871, v4
	v_dual_fmac_f32 v4, 0x3f737871, v7 :: v_dual_fmac_f32 v17, v38, v18
	s_delay_alu instid0(VALU_DEP_4) | instskip(SKIP_1) | instid1(VALU_DEP_3)
	v_dual_fmac_f32 v12, 0xbf167918, v7 :: v_dual_sub_f32 v11, v27, v28
	v_sub_f32_e32 v18, v25, v29
	v_fmac_f32_e32 v4, 0x3f167918, v9
	v_sub_f32_e32 v20, v16, v30
	v_fmac_f32_e32 v8, 0x3f167918, v7
	s_delay_alu instid0(VALU_DEP_3) | instskip(NEXT) | instid1(VALU_DEP_3)
	v_dual_fmac_f32 v4, 0x3e9e377a, v13 :: v_dual_add_f32 v5, v5, v27
	v_add_f32_e32 v18, v18, v20
	v_sub_f32_e32 v20, v29, v25
	s_delay_alu instid0(VALU_DEP_3) | instskip(SKIP_1) | instid1(VALU_DEP_1)
	v_add_f32_e32 v10, v5, v28
	v_sub_f32_e32 v5, v26, v24
	v_add_f32_e32 v11, v5, v11
	s_delay_alu instid0(VALU_DEP_1)
	v_dual_add_f32 v15, v29, v30 :: v_dual_fmac_f32 v8, 0x3e9e377a, v11
	v_fmac_f32_e32 v12, 0x3e9e377a, v11
	v_fmac_f32_e32 v6, 0xbf167918, v9
	v_add_f32_e32 v9, v14, v29
	v_sub_f32_e32 v14, v26, v27
	v_fma_f32 v5, -0.5, v15, v21
	s_delay_alu instid0(VALU_DEP_4) | instskip(NEXT) | instid1(VALU_DEP_4)
	v_dual_sub_f32 v15, v24, v28 :: v_dual_fmac_f32 v6, 0x3e9e377a, v13
	v_dual_add_f32 v13, v9, v30 :: v_dual_sub_f32 v24, v34, v36
	v_dual_add_f32 v9, v25, v16 :: v_dual_add_f32 v26, v31, v17
	v_sub_f32_e32 v28, v19, v36
	s_delay_alu instid0(VALU_DEP_3) | instskip(SKIP_1) | instid1(VALU_DEP_4)
	v_add_f32_e32 v11, v13, v16
	v_sub_f32_e32 v16, v30, v16
	v_fma_f32 v9, -0.5, v9, v21
	v_add_f32_e32 v21, v32, v35
	v_dual_sub_f32 v27, v31, v17 :: v_dual_sub_f32 v30, v36, v19
	s_delay_alu instid0(VALU_DEP_3) | instskip(SKIP_3) | instid1(VALU_DEP_4)
	v_dual_add_f32 v20, v20, v16 :: v_dual_fmamk_f32 v13, v14, 0xbf737871, v9
	v_dual_fmac_f32 v9, 0x3f737871, v14 :: v_dual_add_f32 v16, v22, v31
	v_fmamk_f32 v7, v15, 0x3f737871, v5
	v_fmac_f32_e32 v5, 0xbf737871, v15
	v_fmac_f32_e32 v13, 0x3f167918, v15
	v_sub_f32_e32 v29, v34, v33
	s_delay_alu instid0(VALU_DEP_4) | instskip(NEXT) | instid1(VALU_DEP_4)
	v_fmac_f32_e32 v7, 0x3f167918, v14
	v_fmac_f32_e32 v5, 0xbf167918, v14
	v_fma_f32 v14, -0.5, v21, v22
	v_sub_f32_e32 v21, v33, v19
	v_fmac_f32_e32 v9, 0xbf167918, v15
	v_fma_f32 v22, -0.5, v26, v22
	v_dual_sub_f32 v25, v17, v35 :: v_dual_sub_f32 v26, v35, v17
	v_fmac_f32_e32 v13, 0x3e9e377a, v20
	s_delay_alu instid0(VALU_DEP_4) | instskip(NEXT) | instid1(VALU_DEP_4)
	v_fmac_f32_e32 v9, 0x3e9e377a, v20
	v_fmamk_f32 v20, v24, 0x3f737871, v22
	v_fmac_f32_e32 v22, 0xbf737871, v24
	v_dual_add_f32 v15, v16, v32 :: v_dual_fmamk_f32 v16, v21, 0xbf737871, v14
	v_fmac_f32_e32 v14, 0x3f737871, v21
	s_delay_alu instid0(VALU_DEP_2) | instskip(SKIP_2) | instid1(VALU_DEP_4)
	v_fmac_f32_e32 v16, 0xbf167918, v24
	v_fmac_f32_e32 v7, 0x3e9e377a, v18
	v_dual_fmac_f32 v5, 0x3e9e377a, v18 :: v_dual_sub_f32 v18, v31, v32
	v_fmac_f32_e32 v14, 0x3f167918, v24
	v_add_f32_e32 v24, v23, v33
	s_delay_alu instid0(VALU_DEP_3) | instskip(NEXT) | instid1(VALU_DEP_1)
	v_add_f32_e32 v25, v18, v25
	v_fmac_f32_e32 v16, 0x3e9e377a, v25
	s_delay_alu instid0(VALU_DEP_4) | instskip(SKIP_3) | instid1(VALU_DEP_4)
	v_dual_fmac_f32 v14, 0x3e9e377a, v25 :: v_dual_sub_f32 v25, v32, v31
	v_fmac_f32_e32 v20, 0xbf167918, v21
	v_dual_fmac_f32 v22, 0x3f167918, v21 :: v_dual_add_f32 v21, v24, v34
	v_add_f32_e32 v24, v33, v19
	v_add_f32_e32 v25, v25, v26
	;; [unrolled: 1-line block ×3, first 2 shown]
	v_sub_f32_e32 v26, v32, v35
	s_delay_alu instid0(VALU_DEP_3) | instskip(NEXT) | instid1(VALU_DEP_3)
	v_fmac_f32_e32 v20, 0x3e9e377a, v25
	v_dual_add_f32 v18, v15, v17 :: v_dual_add_f32 v15, v34, v36
	s_delay_alu instid0(VALU_DEP_1) | instskip(SKIP_1) | instid1(VALU_DEP_2)
	v_fma_f32 v15, -0.5, v15, v23
	v_dual_fmac_f32 v23, -0.5, v24 :: v_dual_sub_f32 v24, v33, v34
	v_fmamk_f32 v17, v27, 0x3f737871, v15
	s_delay_alu instid0(VALU_DEP_2) | instskip(SKIP_1) | instid1(VALU_DEP_4)
	v_dual_fmac_f32 v15, 0xbf737871, v27 :: v_dual_add_f32 v24, v24, v28
	v_dual_fmac_f32 v22, 0x3e9e377a, v25 :: v_dual_add_f32 v25, v21, v36
	v_fmamk_f32 v21, v26, 0xbf737871, v23
	v_fmac_f32_e32 v23, 0x3f737871, v26
	v_fmac_f32_e32 v17, 0x3f167918, v26
	;; [unrolled: 1-line block ×3, first 2 shown]
	s_delay_alu instid0(VALU_DEP_4) | instskip(NEXT) | instid1(VALU_DEP_4)
	v_dual_add_f32 v26, v29, v30 :: v_dual_fmac_f32 v21, 0x3f167918, v27
	v_fmac_f32_e32 v23, 0xbf167918, v27
	v_add_f32_e32 v19, v25, v19
	v_fmac_f32_e32 v17, 0x3e9e377a, v24
	v_fmac_f32_e32 v15, 0x3e9e377a, v24
	;; [unrolled: 1-line block ×4, first 2 shown]
	ds_store_b64 v96, v[6:7] offset:1760
	ds_store_b64 v96, v[12:13] offset:3520
	;; [unrolled: 1-line block ×4, first 2 shown]
	ds_store_2addr_b64 v96, v[10:11], v[18:19] offset1:110
	ds_store_b64 v96, v[16:17] offset:2640
	ds_store_b64 v96, v[20:21] offset:4400
	;; [unrolled: 1-line block ×4, first 2 shown]
	global_wb scope:SCOPE_SE
	s_wait_dscnt 0x0
	s_barrier_signal -1
	s_barrier_wait -1
	global_inv scope:SCOPE_SE
	ds_load_2addr_b64 v[4:7], v96 offset1:110
	v_mad_co_u64_u32 v[20:21], null, s6, v72, 0
	s_wait_dscnt 0x0
	v_mul_f32_e32 v8, v92, v5
	v_mul_f32_e32 v18, v92, v4
	;; [unrolled: 1-line block ×3, first 2 shown]
	s_delay_alu instid0(VALU_DEP_3) | instskip(NEXT) | instid1(VALU_DEP_3)
	v_fmac_f32_e32 v8, v91, v4
	v_fma_f32 v5, v91, v5, -v18
	s_delay_alu instid0(VALU_DEP_3) | instskip(NEXT) | instid1(VALU_DEP_3)
	v_fmac_f32_e32 v30, v83, v6
	v_cvt_f64_f32_e32 v[16:17], v8
	ds_load_2addr_b64 v[8:11], v3 offset0:56 offset1:166
	ds_load_2addr_b64 v[12:15], v2 offset0:20 offset1:130
	;; [unrolled: 1-line block ×3, first 2 shown]
	v_cvt_f64_f32_e32 v[24:25], v5
	v_cvt_f64_f32_e32 v[30:31], v30
	s_wait_dscnt 0x2
	v_mul_f32_e32 v18, v88, v11
	v_mul_f32_e32 v19, v88, v10
	s_wait_dscnt 0x0
	v_mul_f32_e32 v36, v80, v4
	v_mul_f32_e32 v32, v82, v2
	v_fmac_f32_e32 v18, v87, v10
	v_fma_f32 v5, v87, v11, -v19
	s_delay_alu instid0(VALU_DEP_4) | instskip(NEXT) | instid1(VALU_DEP_4)
	v_fmac_f32_e32 v36, v79, v3
	v_fmac_f32_e32 v32, v81, v1
	v_mad_co_u64_u32 v[10:11], null, s4, v95, 0
	v_cvt_f64_f32_e32 v[26:27], v18
	v_cvt_f64_f32_e32 v[28:29], v5
	s_wait_alu 0xfffe
	v_mul_f64_e32 v[22:23], s[2:3], v[16:17]
	ds_load_2addr_b64 v[16:19], v0 offset0:112 offset1:222
	v_mul_f32_e32 v37, v80, v3
	v_dual_mul_f32 v33, v82, v1 :: v_dual_mul_f32 v0, v84, v6
	v_mul_f32_e32 v6, v74, v12
	v_mul_f64_e32 v[24:25], s[2:3], v[24:25]
	s_delay_alu instid0(VALU_DEP_4)
	v_fma_f32 v4, v79, v4, -v37
	v_cvt_f64_f32_e32 v[36:37], v36
	v_fma_f32 v0, v83, v7, -v0
	v_fma_f32 v7, v73, v13, -v6
	v_mul_f64_e32 v[30:31], s[2:3], v[30:31]
	v_cvt_f64_f32_e32 v[38:39], v4
	s_delay_alu instid0(VALU_DEP_4)
	v_cvt_f64_f32_e32 v[0:1], v0
	s_wait_dscnt 0x0
	v_mul_f32_e32 v4, v76, v16
	v_fma_f32 v2, v81, v2, -v33
	v_mul_f32_e32 v40, v76, v17
	v_mul_f32_e32 v42, v90, v19
	;; [unrolled: 1-line block ×3, first 2 shown]
	v_fma_f32 v4, v75, v17, -v4
	v_cvt_f64_f32_e32 v[34:35], v2
	v_mul_f32_e32 v2, v78, v15
	v_dual_mul_f32 v5, v74, v13 :: v_dual_fmac_f32 v40, v75, v16
	v_mul_f32_e32 v16, v86, v9
	v_fmac_f32_e32 v42, v89, v18
	s_delay_alu instid0(VALU_DEP_4) | instskip(NEXT) | instid1(VALU_DEP_4)
	v_fmac_f32_e32 v2, v77, v14
	v_fmac_f32_e32 v5, v73, v12
	v_cvt_f64_f32_e32 v[12:13], v7
	v_dual_mul_f32 v7, v78, v14 :: v_dual_fmac_f32 v16, v85, v8
	v_fma_f32 v44, v89, v19, -v43
	s_delay_alu instid0(VALU_DEP_4) | instskip(SKIP_1) | instid1(VALU_DEP_4)
	v_cvt_f64_f32_e32 v[5:6], v5
	v_cvt_f64_f32_e32 v[32:33], v32
	v_fma_f32 v7, v77, v15, -v7
	v_cvt_f64_f32_e32 v[2:3], v2
	v_cvt_f64_f32_e32 v[40:41], v40
	;; [unrolled: 1-line block ×5, first 2 shown]
	v_mul_f32_e32 v7, v86, v8
	v_cvt_f64_f32_e32 v[44:45], v44
	v_mul_f64_e32 v[26:27], s[2:3], v[26:27]
	v_mul_f64_e32 v[28:29], s[2:3], v[28:29]
	s_delay_alu instid0(VALU_DEP_4) | instskip(SKIP_3) | instid1(VALU_DEP_4)
	v_fma_f32 v9, v85, v9, -v7
	v_cvt_f64_f32_e32 v[7:8], v4
	v_mov_b32_e32 v4, v21
	v_mul_f64_e32 v[0:1], s[2:3], v[0:1]
	v_cvt_f64_f32_e32 v[18:19], v9
	v_mov_b32_e32 v9, v11
	v_mul_f64_e32 v[12:13], s[2:3], v[12:13]
	v_mad_co_u64_u32 v[46:47], null, s7, v72, v[4:5]
	v_mul_f64_e32 v[4:5], s[2:3], v[5:6]
	v_cvt_f32_f64_e32 v6, v[22:23]
	v_mul_f64_e32 v[22:23], s[2:3], v[32:33]
	v_mul_f64_e32 v[32:33], s[2:3], v[34:35]
	;; [unrolled: 1-line block ×8, first 2 shown]
	v_mad_co_u64_u32 v[47:48], null, s5, v95, v[9:10]
	v_mul_f64_e32 v[40:41], s[2:3], v[7:8]
	v_mul_f64_e32 v[42:43], s[2:3], v[42:43]
	;; [unrolled: 1-line block ×3, first 2 shown]
	v_mov_b32_e32 v21, v46
	v_mul_f64_e32 v[18:19], s[2:3], v[18:19]
	v_cvt_f32_f64_e32 v7, v[24:25]
	v_mov_b32_e32 v11, v47
	v_cvt_f32_f64_e32 v24, v[30:31]
	v_lshlrev_b64_e32 v[20:21], 3, v[20:21]
	v_cvt_f32_f64_e32 v25, v[0:1]
	s_movk_i32 s2, 0xf240
	v_lshlrev_b64_e32 v[9:10], 3, v[10:11]
	s_mov_b32 s3, -1
	s_delay_alu instid0(VALU_DEP_3) | instskip(SKIP_3) | instid1(VALU_DEP_2)
	v_add_co_u32 v8, vcc_lo, s0, v20
	s_wait_alu 0xfffd
	v_add_co_ci_u32_e32 v11, vcc_lo, s1, v21, vcc_lo
	s_mul_u64 s[0:1], s[4:5], 0x1130
	v_add_co_u32 v8, vcc_lo, v8, v9
	s_wait_alu 0xfffd
	s_delay_alu instid0(VALU_DEP_2)
	v_add_co_ci_u32_e32 v9, vcc_lo, v11, v10, vcc_lo
	v_cvt_f32_f64_e32 v10, v[26:27]
	v_cvt_f32_f64_e32 v11, v[28:29]
	;; [unrolled: 1-line block ×4, first 2 shown]
	s_wait_alu 0xfffe
	v_add_co_u32 v20, vcc_lo, v8, s0
	s_wait_alu 0xfffd
	v_add_co_ci_u32_e32 v21, vcc_lo, s1, v9, vcc_lo
	s_mul_u64 s[2:3], s[4:5], s[2:3]
	v_cvt_f32_f64_e32 v12, v[22:23]
	s_wait_alu 0xfffe
	v_add_co_u32 v4, vcc_lo, v20, s2
	v_cvt_f32_f64_e32 v13, v[32:33]
	v_cvt_f32_f64_e32 v2, v[2:3]
	;; [unrolled: 1-line block ×5, first 2 shown]
	s_wait_alu 0xfffd
	v_add_co_ci_u32_e32 v5, vcc_lo, s3, v21, vcc_lo
	v_cvt_f32_f64_e32 v22, v[38:39]
	v_cvt_f32_f64_e32 v23, v[40:41]
	;; [unrolled: 1-line block ×6, first 2 shown]
	v_add_co_u32 v26, vcc_lo, v4, s0
	s_wait_alu 0xfffd
	v_add_co_ci_u32_e32 v27, vcc_lo, s1, v5, vcc_lo
	global_store_b64 v[8:9], v[6:7], off
	v_add_co_u32 v28, vcc_lo, v26, s2
	s_wait_alu 0xfffd
	v_add_co_ci_u32_e32 v29, vcc_lo, s3, v27, vcc_lo
	s_delay_alu instid0(VALU_DEP_2) | instskip(SKIP_1) | instid1(VALU_DEP_2)
	v_add_co_u32 v6, vcc_lo, v28, s0
	s_wait_alu 0xfffd
	v_add_co_ci_u32_e32 v7, vcc_lo, s1, v29, vcc_lo
	global_store_b64 v[20:21], v[10:11], off
	v_add_co_u32 v8, vcc_lo, v6, s2
	s_wait_alu 0xfffd
	v_add_co_ci_u32_e32 v9, vcc_lo, s3, v7, vcc_lo
	global_store_b64 v[4:5], v[24:25], off
	;; [unrolled: 4-line block ×5, first 2 shown]
	global_store_b64 v[8:9], v[14:15], off
	global_store_b64 v[4:5], v[22:23], off
	;; [unrolled: 1-line block ×4, first 2 shown]
.LBB0_10:
	s_nop 0
	s_sendmsg sendmsg(MSG_DEALLOC_VGPRS)
	s_endpgm
	.section	.rodata,"a",@progbits
	.p2align	6, 0x0
	.amdhsa_kernel bluestein_single_back_len1100_dim1_sp_op_CI_CI
		.amdhsa_group_segment_fixed_size 8800
		.amdhsa_private_segment_fixed_size 0
		.amdhsa_kernarg_size 104
		.amdhsa_user_sgpr_count 2
		.amdhsa_user_sgpr_dispatch_ptr 0
		.amdhsa_user_sgpr_queue_ptr 0
		.amdhsa_user_sgpr_kernarg_segment_ptr 1
		.amdhsa_user_sgpr_dispatch_id 0
		.amdhsa_user_sgpr_private_segment_size 0
		.amdhsa_wavefront_size32 1
		.amdhsa_uses_dynamic_stack 0
		.amdhsa_enable_private_segment 0
		.amdhsa_system_sgpr_workgroup_id_x 1
		.amdhsa_system_sgpr_workgroup_id_y 0
		.amdhsa_system_sgpr_workgroup_id_z 0
		.amdhsa_system_sgpr_workgroup_info 0
		.amdhsa_system_vgpr_workitem_id 0
		.amdhsa_next_free_vgpr 156
		.amdhsa_next_free_sgpr 20
		.amdhsa_reserve_vcc 1
		.amdhsa_float_round_mode_32 0
		.amdhsa_float_round_mode_16_64 0
		.amdhsa_float_denorm_mode_32 3
		.amdhsa_float_denorm_mode_16_64 3
		.amdhsa_fp16_overflow 0
		.amdhsa_workgroup_processor_mode 1
		.amdhsa_memory_ordered 1
		.amdhsa_forward_progress 0
		.amdhsa_round_robin_scheduling 0
		.amdhsa_exception_fp_ieee_invalid_op 0
		.amdhsa_exception_fp_denorm_src 0
		.amdhsa_exception_fp_ieee_div_zero 0
		.amdhsa_exception_fp_ieee_overflow 0
		.amdhsa_exception_fp_ieee_underflow 0
		.amdhsa_exception_fp_ieee_inexact 0
		.amdhsa_exception_int_div_zero 0
	.end_amdhsa_kernel
	.text
.Lfunc_end0:
	.size	bluestein_single_back_len1100_dim1_sp_op_CI_CI, .Lfunc_end0-bluestein_single_back_len1100_dim1_sp_op_CI_CI
                                        ; -- End function
	.section	.AMDGPU.csdata,"",@progbits
; Kernel info:
; codeLenInByte = 13440
; NumSgprs: 22
; NumVgprs: 156
; ScratchSize: 0
; MemoryBound: 0
; FloatMode: 240
; IeeeMode: 1
; LDSByteSize: 8800 bytes/workgroup (compile time only)
; SGPRBlocks: 2
; VGPRBlocks: 19
; NumSGPRsForWavesPerEU: 22
; NumVGPRsForWavesPerEU: 156
; Occupancy: 9
; WaveLimiterHint : 1
; COMPUTE_PGM_RSRC2:SCRATCH_EN: 0
; COMPUTE_PGM_RSRC2:USER_SGPR: 2
; COMPUTE_PGM_RSRC2:TRAP_HANDLER: 0
; COMPUTE_PGM_RSRC2:TGID_X_EN: 1
; COMPUTE_PGM_RSRC2:TGID_Y_EN: 0
; COMPUTE_PGM_RSRC2:TGID_Z_EN: 0
; COMPUTE_PGM_RSRC2:TIDIG_COMP_CNT: 0
	.text
	.p2alignl 7, 3214868480
	.fill 96, 4, 3214868480
	.type	__hip_cuid_6874c63165e367d7,@object ; @__hip_cuid_6874c63165e367d7
	.section	.bss,"aw",@nobits
	.globl	__hip_cuid_6874c63165e367d7
__hip_cuid_6874c63165e367d7:
	.byte	0                               ; 0x0
	.size	__hip_cuid_6874c63165e367d7, 1

	.ident	"AMD clang version 19.0.0git (https://github.com/RadeonOpenCompute/llvm-project roc-6.4.0 25133 c7fe45cf4b819c5991fe208aaa96edf142730f1d)"
	.section	".note.GNU-stack","",@progbits
	.addrsig
	.addrsig_sym __hip_cuid_6874c63165e367d7
	.amdgpu_metadata
---
amdhsa.kernels:
  - .args:
      - .actual_access:  read_only
        .address_space:  global
        .offset:         0
        .size:           8
        .value_kind:     global_buffer
      - .actual_access:  read_only
        .address_space:  global
        .offset:         8
        .size:           8
        .value_kind:     global_buffer
      - .actual_access:  read_only
        .address_space:  global
        .offset:         16
        .size:           8
        .value_kind:     global_buffer
      - .actual_access:  read_only
        .address_space:  global
        .offset:         24
        .size:           8
        .value_kind:     global_buffer
      - .actual_access:  read_only
        .address_space:  global
        .offset:         32
        .size:           8
        .value_kind:     global_buffer
      - .offset:         40
        .size:           8
        .value_kind:     by_value
      - .address_space:  global
        .offset:         48
        .size:           8
        .value_kind:     global_buffer
      - .address_space:  global
        .offset:         56
        .size:           8
        .value_kind:     global_buffer
      - .address_space:  global
        .offset:         64
        .size:           8
        .value_kind:     global_buffer
      - .address_space:  global
        .offset:         72
        .size:           8
        .value_kind:     global_buffer
      - .offset:         80
        .size:           4
        .value_kind:     by_value
      - .address_space:  global
        .offset:         88
        .size:           8
        .value_kind:     global_buffer
      - .address_space:  global
        .offset:         96
        .size:           8
        .value_kind:     global_buffer
    .group_segment_fixed_size: 8800
    .kernarg_segment_align: 8
    .kernarg_segment_size: 104
    .language:       OpenCL C
    .language_version:
      - 2
      - 0
    .max_flat_workgroup_size: 110
    .name:           bluestein_single_back_len1100_dim1_sp_op_CI_CI
    .private_segment_fixed_size: 0
    .sgpr_count:     22
    .sgpr_spill_count: 0
    .symbol:         bluestein_single_back_len1100_dim1_sp_op_CI_CI.kd
    .uniform_work_group_size: 1
    .uses_dynamic_stack: false
    .vgpr_count:     156
    .vgpr_spill_count: 0
    .wavefront_size: 32
    .workgroup_processor_mode: 1
amdhsa.target:   amdgcn-amd-amdhsa--gfx1201
amdhsa.version:
  - 1
  - 2
...

	.end_amdgpu_metadata
